;; amdgpu-corpus repo=ROCm/rocFFT kind=compiled arch=gfx1201 opt=O3
	.text
	.amdgcn_target "amdgcn-amd-amdhsa--gfx1201"
	.amdhsa_code_object_version 6
	.protected	bluestein_single_back_len780_dim1_half_op_CI_CI ; -- Begin function bluestein_single_back_len780_dim1_half_op_CI_CI
	.globl	bluestein_single_back_len780_dim1_half_op_CI_CI
	.p2align	8
	.type	bluestein_single_back_len780_dim1_half_op_CI_CI,@function
bluestein_single_back_len780_dim1_half_op_CI_CI: ; @bluestein_single_back_len780_dim1_half_op_CI_CI
; %bb.0:
	s_load_b128 s[16:19], s[0:1], 0x28
	v_mul_u32_u24_e32 v1, 0x349, v0
	s_mov_b32 s2, exec_lo
	s_delay_alu instid0(VALU_DEP_1) | instskip(NEXT) | instid1(VALU_DEP_1)
	v_lshrrev_b32_e32 v1, 16, v1
	v_mad_co_u64_u32 v[16:17], null, ttmp9, 3, v[1:2]
	v_mov_b32_e32 v17, 0
                                        ; kill: def $vgpr2 killed $sgpr0 killed $exec
	s_wait_kmcnt 0x0
	s_delay_alu instid0(VALU_DEP_1)
	v_cmpx_gt_u64_e64 s[16:17], v[16:17]
	s_cbranch_execz .LBB0_18
; %bb.1:
	s_clause 0x1
	s_load_b128 s[4:7], s[0:1], 0x18
	s_load_b128 s[8:11], s[0:1], 0x0
	v_mul_lo_u16 v1, 0x4e, v1
	s_movk_i32 s2, 0xfb20
	s_mov_b32 s3, -1
	s_delay_alu instid0(VALU_DEP_1) | instskip(NEXT) | instid1(VALU_DEP_1)
	v_sub_nc_u16 v17, v0, v1
	v_and_b32_e32 v42, 0xffff, v17
	v_lshlrev_b16 v13, 1, v17
	s_delay_alu instid0(VALU_DEP_1)
	v_and_b32_e32 v13, 0xffff, v13
	s_wait_kmcnt 0x0
	s_load_b128 s[12:15], s[4:5], 0x0
	s_wait_kmcnt 0x0
	v_mad_co_u64_u32 v[0:1], null, s14, v16, 0
	v_mad_co_u64_u32 v[2:3], null, s12, v42, 0
	s_mul_u64 s[4:5], s[12:13], 0x618
	s_mul_u64 s[2:3], s[12:13], s[2:3]
	s_delay_alu instid0(VALU_DEP_1) | instskip(NEXT) | instid1(VALU_DEP_1)
	v_mad_co_u64_u32 v[4:5], null, s15, v16, v[1:2]
	v_mov_b32_e32 v1, v4
	s_delay_alu instid0(VALU_DEP_3)
	v_mad_co_u64_u32 v[5:6], null, s13, v42, v[3:4]
	v_lshlrev_b32_e32 v63, 2, v42
	s_clause 0x1
	global_load_b32 v40, v63, s[8:9] offset:1872
	global_load_b32 v37, v63, s[8:9] offset:2184
	v_mov_b32_e32 v3, v5
	v_lshlrev_b64_e32 v[0:1], 2, v[0:1]
	s_clause 0x7
	global_load_b32 v48, v63, s[8:9]
	global_load_b32 v45, v63, s[8:9] offset:312
	global_load_b32 v39, v63, s[8:9] offset:624
	;; [unrolled: 1-line block ×7, first 2 shown]
	v_add_co_u32 v6, null, 0x4e, v42
	v_lshlrev_b64_e32 v[2:3], 2, v[2:3]
	v_add_co_u32 v0, vcc_lo, s18, v0
	v_add_co_ci_u32_e32 v1, vcc_lo, s19, v1, vcc_lo
	s_delay_alu instid0(VALU_DEP_2) | instskip(SKIP_1) | instid1(VALU_DEP_2)
	v_add_co_u32 v0, vcc_lo, v0, v2
	s_wait_alu 0xfffd
	v_add_co_ci_u32_e32 v1, vcc_lo, v1, v3, vcc_lo
	global_load_b32 v4, v[0:1], off
	v_add_co_u32 v0, vcc_lo, v0, s4
	s_wait_alu 0xfffd
	v_add_co_ci_u32_e32 v1, vcc_lo, s5, v1, vcc_lo
	s_delay_alu instid0(VALU_DEP_2) | instskip(SKIP_1) | instid1(VALU_DEP_2)
	v_add_co_u32 v2, vcc_lo, v0, s2
	s_wait_alu 0xfffd
	v_add_co_ci_u32_e32 v3, vcc_lo, s3, v1, vcc_lo
	global_load_b32 v5, v[0:1], off
	v_add_co_u32 v0, vcc_lo, v2, s4
	s_wait_alu 0xfffd
	v_add_co_ci_u32_e32 v1, vcc_lo, s5, v3, vcc_lo
	s_clause 0x1
	global_load_b32 v7, v[2:3], off
	global_load_b32 v8, v[0:1], off
	v_add_co_u32 v0, vcc_lo, v0, s2
	s_wait_alu 0xfffd
	v_add_co_ci_u32_e32 v1, vcc_lo, s3, v1, vcc_lo
	s_delay_alu instid0(VALU_DEP_2) | instskip(SKIP_1) | instid1(VALU_DEP_2)
	v_add_co_u32 v2, vcc_lo, v0, s4
	s_wait_alu 0xfffd
	v_add_co_ci_u32_e32 v3, vcc_lo, s5, v1, vcc_lo
	global_load_b32 v9, v[0:1], off
	v_add_co_u32 v0, vcc_lo, v2, s2
	s_wait_alu 0xfffd
	v_add_co_ci_u32_e32 v1, vcc_lo, s3, v3, vcc_lo
	global_load_b32 v10, v[2:3], off
	;; [unrolled: 4-line block ×5, first 2 shown]
	global_load_b32 v1, v[2:3], off
	v_mul_hi_u32 v2, 0xaaaaaaab, v16
	s_load_b128 s[4:7], s[6:7], 0x0
	s_load_b64 s[2:3], s[0:1], 0x38
	v_cmp_gt_u16_e32 vcc_lo, 26, v17
	s_delay_alu instid0(VALU_DEP_2) | instskip(NEXT) | instid1(VALU_DEP_1)
	v_lshrrev_b32_e32 v2, 1, v2
	v_lshl_add_u32 v2, v2, 1, v2
	s_delay_alu instid0(VALU_DEP_1) | instskip(NEXT) | instid1(VALU_DEP_1)
	v_sub_nc_u32_e32 v2, v16, v2
	v_mul_u32_u24_e32 v66, 0x30c, v2
	s_delay_alu instid0(VALU_DEP_1) | instskip(NEXT) | instid1(VALU_DEP_1)
	v_lshlrev_b32_e32 v51, 2, v66
	v_add_nc_u32_e32 v43, v63, v51
	v_lshl_add_u32 v55, v13, 2, v51
	v_lshl_add_u32 v56, v6, 3, v51
	;; [unrolled: 1-line block ×3, first 2 shown]
	s_delay_alu instid0(VALU_DEP_4)
	v_add_nc_u32_e32 v14, 0x600, v43
	v_add_nc_u32_e32 v19, 0x400, v43
	;; [unrolled: 1-line block ×3, first 2 shown]
	s_wait_loadcnt 0x13
	v_lshrrev_b32_e32 v44, 16, v40
	s_wait_loadcnt 0x11
	v_lshrrev_b32_e32 v50, 16, v48
	;; [unrolled: 2-line block ×3, first 2 shown]
	v_lshrrev_b32_e32 v46, 16, v45
	v_lshrrev_b32_e32 v41, 16, v39
	;; [unrolled: 1-line block ×4, first 2 shown]
	s_wait_loadcnt 0xb
	v_lshrrev_b32_e32 v34, 16, v33
	v_lshrrev_b32_e32 v32, 16, v31
	s_wait_loadcnt 0xa
	v_lshrrev_b32_e32 v30, 16, v29
	s_wait_loadcnt 0x9
	v_lshrrev_b32_e32 v2, 16, v4
	v_mul_f16_e32 v3, v50, v4
	s_delay_alu instid0(VALU_DEP_2) | instskip(NEXT) | instid1(VALU_DEP_2)
	v_mul_f16_e32 v15, v50, v2
	v_fma_f16 v2, v48, v2, -v3
	s_wait_loadcnt 0x8
	v_lshrrev_b32_e32 v20, 16, v5
	v_mul_f16_e32 v21, v49, v5
	v_fmac_f16_e32 v15, v48, v4
	s_delay_alu instid0(VALU_DEP_3)
	v_mul_f16_e32 v3, v49, v20
	s_wait_loadcnt 0x7
	v_lshrrev_b32_e32 v4, 16, v7
	v_fma_f16 v20, v47, v20, -v21
	v_mul_f16_e32 v21, v46, v7
	v_pack_b32_f16 v2, v15, v2
	v_fmac_f16_e32 v3, v47, v5
	v_mul_f16_e32 v5, v46, v4
	s_wait_loadcnt 0x6
	v_lshrrev_b32_e32 v15, 16, v8
	v_fma_f16 v4, v45, v4, -v21
	v_mul_f16_e32 v22, v44, v8
	v_pack_b32_f16 v3, v3, v20
	v_fmac_f16_e32 v5, v45, v7
	s_wait_loadcnt 0x5
	v_lshrrev_b32_e32 v20, 16, v9
	v_mul_f16_e32 v7, v44, v15
	v_mul_f16_e32 v21, v41, v9
	ds_store_b32 v43, v3 offset:1560
	v_pack_b32_f16 v3, v5, v4
	v_mul_f16_e32 v4, v41, v20
	v_fma_f16 v15, v40, v15, -v22
	v_fmac_f16_e32 v7, v40, v8
	v_fma_f16 v5, v39, v20, -v21
	s_wait_loadcnt 0x4
	v_lshrrev_b32_e32 v8, 16, v10
	v_mul_f16_e32 v20, v38, v10
	v_fmac_f16_e32 v4, v39, v9
	s_wait_loadcnt 0x3
	v_lshrrev_b32_e32 v9, 16, v11
	v_pack_b32_f16 v7, v7, v15
	v_mul_f16_e32 v15, v38, v8
	v_fma_f16 v8, v37, v8, -v20
	v_mul_f16_e32 v20, v36, v11
	v_pack_b32_f16 v4, v4, v5
	v_mul_f16_e32 v5, v36, v9
	v_fmac_f16_e32 v15, v37, v10
	s_wait_loadcnt 0x2
	v_lshrrev_b32_e32 v10, 16, v12
	v_fma_f16 v9, v35, v9, -v20
	v_mul_f16_e32 v20, v34, v12
	v_fmac_f16_e32 v5, v35, v11
	s_wait_loadcnt 0x1
	v_lshrrev_b32_e32 v11, 16, v0
	s_wait_loadcnt 0x0
	v_lshrrev_b32_e32 v22, 16, v1
	v_mul_f16_e32 v21, v34, v10
	v_fma_f16 v10, v33, v10, -v20
	v_mul_f16_e32 v20, v32, v0
	v_mul_f16_e32 v23, v32, v11
	;; [unrolled: 1-line block ×4, first 2 shown]
	v_fmac_f16_e32 v21, v33, v12
	v_fma_f16 v11, v31, v11, -v20
	v_fmac_f16_e32 v23, v31, v0
	v_fma_f16 v0, v29, v22, -v24
	v_fmac_f16_e32 v25, v29, v1
	v_pack_b32_f16 v1, v15, v8
	v_pack_b32_f16 v5, v5, v9
	;; [unrolled: 1-line block ×5, first 2 shown]
	ds_store_2addr_b32 v43, v2, v3 offset1:78
	ds_store_2addr_b32 v14, v7, v1 offset0:84 offset1:162
	ds_store_2addr_b32 v43, v4, v5 offset0:156 offset1:234
	ds_store_b32 v43, v9 offset:1248
	ds_store_2addr_b32 v18, v8, v0 offset0:112 offset1:190
	global_wb scope:SCOPE_SE
	s_wait_dscnt 0x0
	s_wait_kmcnt 0x0
	s_barrier_signal -1
	s_barrier_wait -1
	global_inv scope:SCOPE_SE
	ds_load_2addr_b32 v[0:1], v19 offset0:56 offset1:134
	ds_load_2addr_b32 v[2:3], v43 offset1:78
	ds_load_2addr_b32 v[4:5], v14 offset0:84 offset1:162
	ds_load_2addr_b32 v[9:10], v43 offset0:156 offset1:234
	;; [unrolled: 1-line block ×3, first 2 shown]
	v_add_co_u32 v8, null, 0x9c, v42
	v_add_co_u32 v7, null, 0xea, v42
	v_add_nc_u32_e32 v20, 0x200, v43
	s_delay_alu instid0(VALU_DEP_3)
	v_lshl_add_u32 v57, v8, 3, v51
	global_wb scope:SCOPE_SE
	s_wait_dscnt 0x0
	v_lshl_add_u32 v58, v7, 3, v51
	s_barrier_signal -1
	s_barrier_wait -1
	global_inv scope:SCOPE_SE
	v_pk_add_f16 v13, v2, v1 neg_lo:[0,1] neg_hi:[0,1]
	v_pk_add_f16 v4, v3, v4 neg_lo:[0,1] neg_hi:[0,1]
	;; [unrolled: 1-line block ×5, first 2 shown]
	v_pk_fma_f16 v12, v2, 2.0, v13 op_sel_hi:[1,0,1] neg_lo:[0,0,1] neg_hi:[0,0,1]
	v_pk_fma_f16 v3, v3, 2.0, v4 op_sel_hi:[1,0,1] neg_lo:[0,0,1] neg_hi:[0,0,1]
	;; [unrolled: 1-line block ×5, first 2 shown]
	ds_store_b64 v55, v[12:13]
	ds_store_b64 v56, v[3:4]
	;; [unrolled: 1-line block ×4, first 2 shown]
	ds_store_b64 v54, v[0:1] offset:2496
	global_wb scope:SCOPE_SE
	s_wait_dscnt 0x0
	s_barrier_signal -1
	s_barrier_wait -1
	global_inv scope:SCOPE_SE
	ds_load_2addr_b32 v[14:15], v43 offset1:78
	ds_load_2addr_b32 v[21:22], v20 offset0:28 offset1:132
	ds_load_2addr_b32 v[4:5], v18 offset0:8 offset1:86
	;; [unrolled: 1-line block ×3, first 2 shown]
	ds_load_b32 v0, v43 offset:2704
                                        ; implicit-def: $vgpr9
                                        ; implicit-def: $vgpr11
                                        ; implicit-def: $vgpr10
                                        ; implicit-def: $vgpr12
	s_and_saveexec_b32 s0, vcc_lo
	s_cbranch_execz .LBB0_3
; %bb.2:
	ds_load_b32 v9, v43 offset:1976
	ds_load_b32 v10, v43 offset:3016
	;; [unrolled: 1-line block ×3, first 2 shown]
	s_wait_dscnt 0x2
	v_lshrrev_b32_e32 v11, 16, v9
	s_wait_dscnt 0x1
	v_lshrrev_b32_e32 v12, 16, v10
.LBB0_3:
	s_wait_alu 0xfffe
	s_or_b32 exec_lo, exec_lo, s0
	v_and_b32_e32 v53, 1, v42
	v_lshrrev_b32_e32 v26, 1, v42
	v_lshrrev_b32_e32 v6, 1, v6
	;; [unrolled: 1-line block ×4, first 2 shown]
	v_lshlrev_b32_e32 v13, 3, v53
	v_mul_u32_u24_e32 v7, 6, v26
	v_mul_u32_u24_e32 v6, 6, v6
	v_mul_u32_u24_e32 v8, 6, v8
	s_wait_dscnt 0x2
	v_lshrrev_b32_e32 v19, 16, v4
	global_load_b64 v[17:18], v13, s[10:11]
	v_lshrrev_b32_e32 v13, 16, v22
	v_or_b32_e32 v7, v7, v53
	v_or_b32_e32 v6, v6, v53
	;; [unrolled: 1-line block ×3, first 2 shown]
	s_wait_dscnt 0x1
	v_lshrrev_b32_e32 v20, 16, v2
	v_lshrrev_b32_e32 v23, 16, v5
	;; [unrolled: 1-line block ×3, first 2 shown]
	s_wait_dscnt 0x0
	v_lshrrev_b32_e32 v25, 16, v0
	v_lshl_add_u32 v61, v7, 2, v51
	v_lshl_add_u32 v62, v6, 2, v51
	;; [unrolled: 1-line block ×3, first 2 shown]
	v_lshrrev_b32_e32 v82, 16, v14
	v_lshrrev_b32_e32 v81, 16, v15
	;; [unrolled: 1-line block ×4, first 2 shown]
	global_wb scope:SCOPE_SE
	s_wait_loadcnt 0x0
	s_barrier_signal -1
	s_barrier_wait -1
	global_inv scope:SCOPE_SE
	v_lshrrev_b32_e32 v65, 16, v17
	v_lshrrev_b32_e32 v64, 16, v18
	s_delay_alu instid0(VALU_DEP_2) | instskip(SKIP_1) | instid1(VALU_DEP_3)
	v_mul_f16_e32 v6, v13, v65
	v_mul_f16_e32 v7, v22, v65
	;; [unrolled: 1-line block ×16, first 2 shown]
	v_fma_f16 v6, v22, v17, -v6
	v_fmac_f16_e32 v7, v13, v17
	v_fma_f16 v4, v4, v18, -v8
	v_fmac_f16_e32 v26, v19, v18
	;; [unrolled: 2-line block ×8, first 2 shown]
	v_add_f16_e32 v11, v6, v4
	v_sub_f16_e32 v19, v7, v26
	v_add_f16_e32 v13, v82, v7
	v_add_f16_e32 v7, v7, v26
	v_add_f16_e32 v22, v2, v5
	v_sub_f16_e32 v25, v28, v67
	v_add_f16_e32 v27, v81, v28
	v_add_f16_e32 v28, v28, v67
	;; [unrolled: 4-line block ×3, first 2 shown]
	v_add_f16_e32 v10, v14, v6
	v_sub_f16_e32 v6, v6, v4
	v_add_f16_e32 v76, v8, v9
	v_sub_f16_e32 v77, v73, v75
	v_add_f16_e32 v78, v91, v73
	v_add_f16_e32 v73, v73, v75
	v_fma_f16 v23, -0.5, v11, v14
	v_fmac_f16_e32 v82, -0.5, v7
	v_add_f16_e32 v20, v15, v2
	v_sub_f16_e32 v2, v2, v5
	v_fmac_f16_e32 v15, -0.5, v22
	v_fmac_f16_e32 v81, -0.5, v28
	v_add_f16_e32 v52, v21, v3
	v_sub_f16_e32 v3, v3, v0
	v_fmac_f16_e32 v21, -0.5, v68
	v_fmac_f16_e32 v80, -0.5, v69
	v_add_f16_e32 v74, v1, v8
	v_sub_f16_e32 v8, v8, v9
	v_add_f16_e32 v12, v10, v4
	v_add_f16_e32 v79, v13, v26
	v_fma_f16 v26, -0.5, v76, v1
	v_fmac_f16_e32 v91, -0.5, v73
	v_fmamk_f16 v13, v19, 0x3aee, v23
	v_fmamk_f16 v96, v6, 0xbaee, v82
	v_fmac_f16_e32 v23, 0xbaee, v19
	v_fmac_f16_e32 v82, 0x3aee, v6
	v_add_f16_e32 v24, v20, v5
	v_add_f16_e32 v92, v27, v67
	v_fmamk_f16 v14, v25, 0x3aee, v15
	v_fmamk_f16 v106, v2, 0xbaee, v81
	v_fmac_f16_e32 v15, 0xbaee, v25
	v_fmac_f16_e32 v81, 0x3aee, v2
	v_add_f16_e32 v27, v52, v0
	v_add_f16_e32 v94, v72, v71
	v_fmamk_f16 v28, v70, 0x3aee, v21
	v_fmamk_f16 v107, v3, 0xbaee, v80
	v_add_f16_e32 v22, v74, v9
	v_add_f16_e32 v95, v78, v75
	v_fmac_f16_e32 v21, 0xbaee, v70
	v_fmac_f16_e32 v80, 0x3aee, v3
	v_fmamk_f16 v25, v77, 0x3aee, v26
	v_fmac_f16_e32 v26, 0xbaee, v77
	v_fmamk_f16 v105, v8, 0xbaee, v91
	v_fmac_f16_e32 v91, 0x3aee, v8
	v_pack_b32_f16 v0, v12, v79
	v_pack_b32_f16 v3, v13, v96
	;; [unrolled: 1-line block ×9, first 2 shown]
	ds_store_2addr_b32 v61, v0, v3 offset1:2
	ds_store_b32 v61, v4 offset:16
	ds_store_2addr_b32 v62, v1, v5 offset1:2
	ds_store_b32 v62, v6 offset:16
	;; [unrolled: 2-line block ×3, first 2 shown]
	s_and_saveexec_b32 s0, vcc_lo
	s_cbranch_execz .LBB0_5
; %bb.4:
	v_mul_u32_u24_e32 v0, 6, v59
	v_perm_b32 v1, v95, v22, 0x5040100
	v_perm_b32 v2, v105, v25, 0x5040100
	;; [unrolled: 1-line block ×3, first 2 shown]
	s_delay_alu instid0(VALU_DEP_4) | instskip(NEXT) | instid1(VALU_DEP_1)
	v_or_b32_e32 v0, v0, v53
	v_lshl_add_u32 v0, v0, 2, v51
	ds_store_2addr_b32 v0, v1, v2 offset1:2
	ds_store_b32 v0, v3 offset:16
.LBB0_5:
	s_wait_alu 0xfffe
	s_or_b32 exec_lo, exec_lo, s0
	v_add_co_u32 v19, s0, s8, v63
	s_wait_alu 0xf1ff
	v_add_co_ci_u32_e64 v20, null, s9, 0, s0
	v_cmp_gt_u16_e64 s0, 60, v42
	global_wb scope:SCOPE_SE
	s_wait_dscnt 0x0
	s_barrier_signal -1
	s_barrier_wait -1
	global_inv scope:SCOPE_SE
                                        ; implicit-def: $vgpr108
                                        ; implicit-def: $vgpr109
	s_and_saveexec_b32 s1, s0
	s_cbranch_execz .LBB0_7
; %bb.6:
	v_add_nc_u32_e32 v0, 0x200, v43
	v_add_nc_u32_e32 v1, 0x400, v43
	v_add_nc_u32_e32 v2, 0x600, v43
	ds_load_2addr_b32 v[12:13], v43 offset1:60
	ds_load_2addr_b32 v[23:24], v43 offset0:120 offset1:180
	ds_load_2addr_b32 v[14:15], v0 offset0:112 offset1:172
	v_add_nc_u32_e32 v0, 0x800, v43
	ds_load_2addr_b32 v[27:28], v1 offset0:104 offset1:164
	ds_load_2addr_b32 v[21:22], v2 offset0:96 offset1:156
	ds_load_2addr_b32 v[25:26], v0 offset0:88 offset1:148
	ds_load_b32 v108, v43 offset:2880
	s_wait_dscnt 0x6
	v_lshrrev_b32_e32 v79, 16, v12
	v_lshrrev_b32_e32 v96, 16, v13
	s_wait_dscnt 0x5
	v_lshrrev_b32_e32 v82, 16, v23
	v_lshrrev_b32_e32 v92, 16, v24
	;; [unrolled: 3-line block ×6, first 2 shown]
	s_wait_dscnt 0x0
	v_lshrrev_b32_e32 v109, 16, v108
.LBB0_7:
	s_wait_alu 0xfffe
	s_or_b32 exec_lo, exec_lo, s1
	v_and_b32_e32 v0, 0xff, v42
	v_add_nc_u32_e32 v93, 0x9c0, v54
	s_delay_alu instid0(VALU_DEP_2) | instskip(NEXT) | instid1(VALU_DEP_1)
	v_mul_lo_u16 v0, 0xab, v0
	v_lshrrev_b16 v120, 10, v0
	s_delay_alu instid0(VALU_DEP_1) | instskip(NEXT) | instid1(VALU_DEP_1)
	v_mul_lo_u16 v0, v120, 6
	v_sub_nc_u16 v0, v42, v0
	s_delay_alu instid0(VALU_DEP_1) | instskip(NEXT) | instid1(VALU_DEP_1)
	v_and_b32_e32 v52, 0xff, v0
	v_mad_co_u64_u32 v[8:9], null, v52, 48, s[10:11]
	s_clause 0x2
	global_load_b128 v[4:7], v[8:9], off offset:16
	global_load_b128 v[0:3], v[8:9], off offset:32
	;; [unrolled: 1-line block ×3, first 2 shown]
	global_wb scope:SCOPE_SE
	s_wait_loadcnt 0x0
	s_barrier_signal -1
	s_barrier_wait -1
	global_inv scope:SCOPE_SE
	v_lshrrev_b32_e32 v77, 16, v4
	v_lshrrev_b32_e32 v75, 16, v5
	;; [unrolled: 1-line block ×5, first 2 shown]
	v_mul_f16_e32 v54, v96, v77
	v_mul_f16_e32 v100, v13, v77
	;; [unrolled: 1-line block ×4, first 2 shown]
	v_lshrrev_b32_e32 v73, 16, v6
	v_lshrrev_b32_e32 v69, 16, v0
	;; [unrolled: 1-line block ×3, first 2 shown]
	v_mul_f16_e32 v101, v82, v75
	v_mul_f16_e32 v99, v23, v75
	;; [unrolled: 1-line block ×5, first 2 shown]
	v_fma_f16 v104, v13, v4, -v54
	v_fmac_f16_e32 v100, v96, v4
	v_fma_f16 v13, v108, v11, -v118
	v_fmac_f16_e32 v83, v109, v11
	v_lshrrev_b32_e32 v67, 16, v1
	v_lshrrev_b32_e32 v68, 16, v2
	;; [unrolled: 1-line block ×4, first 2 shown]
	v_mul_f16_e32 v102, v92, v73
	v_mul_f16_e32 v98, v24, v73
	;; [unrolled: 1-line block ×7, first 2 shown]
	v_fma_f16 v103, v23, v5, -v101
	v_fmac_f16_e32 v99, v82, v5
	v_fma_f16 v101, v14, v7, -v110
	v_fma_f16 v14, v26, v10, -v117
	v_fmac_f16_e32 v84, v91, v10
	v_sub_f16_e64 v148, v104, v13
	v_sub_f16_e64 v155, v100, v83
	v_mul_f16_e32 v89, v27, v67
	v_mul_f16_e32 v113, v107, v68
	;; [unrolled: 1-line block ×5, first 2 shown]
	v_fma_f16 v102, v24, v6, -v102
	v_fmac_f16_e32 v98, v92, v6
	v_fma_f16 v82, v15, v0, -v111
	v_fmac_f16_e32 v90, v81, v0
	;; [unrolled: 2-line block ×3, first 2 shown]
	v_add_f16_e64 v140, v104, v13
	v_add_f16_e64 v160, v100, v83
	v_sub_f16_e64 v147, v103, v14
	v_sub_f16_e64 v154, v99, v84
	v_mul_f16_e64 v81, 0xb770, v155
	v_mul_f16_e64 v111, 0xb770, v148
	;; [unrolled: 1-line block ×6, first 2 shown]
	v_mul_f16_e32 v112, v94, v67
	v_mul_f16_e32 v88, v28, v68
	;; [unrolled: 1-line block ×3, first 2 shown]
	v_fmac_f16_e32 v97, v106, v7
	v_fmac_f16_e32 v89, v94, v1
	v_fma_f16 v24, v28, v2, -v113
	v_fma_f16 v23, v21, v3, -v114
	;; [unrolled: 1-line block ×3, first 2 shown]
	v_fmac_f16_e32 v86, v95, v8
	v_add_f16_e64 v133, v103, v14
	v_add_f16_e64 v159, v99, v84
	v_sub_f16_e64 v146, v102, v15
	v_sub_f16_e64 v153, v98, v85
	v_mul_f16_e64 v105, 0xba95, v154
	v_mul_f16_e64 v110, 0xba95, v147
	;; [unrolled: 1-line block ×6, first 2 shown]
	v_fma_f16 v28, 0x3b15, v140, v81
	v_fma_f16 v54, v160, 0x3b15, -v111
	v_fma_f16 v91, 0x388b, v140, v117
	v_fma_f16 v92, v160, 0x388b, -v125
	v_fma_f16 v94, 0x2fb7, v140, v134
	v_fma_f16 v96, v160, 0x2fb7, -v142
	v_fmac_f16_e32 v87, v80, v3
	v_add_f16_e64 v132, v102, v15
	v_add_f16_e64 v158, v98, v85
	v_sub_f16_e64 v151, v97, v86
	v_sub_f16_e64 v139, v101, v21
	v_mul_f16_e64 v80, 0xbbf1, v153
	v_mul_f16_e64 v108, 0xbbf1, v146
	v_mul_f16_e64 v119, 0xb3a8, v153
	v_mul_f16_e64 v121, 0xb3a8, v146
	v_mul_f16_e64 v130, 0x3b7b, v153
	v_mul_f16_e64 v144, 0x3b7b, v146
	v_fma_f16 v95, 0x388b, v133, v105
	v_fma_f16 v161, v159, 0x388b, -v110
	v_fma_f16 v162, 0xb5ac, v133, v118
	v_fma_f16 v163, v159, 0xb5ac, -v126
	;; [unrolled: 2-line block ×3, first 2 shown]
	v_add_f16_e32 v28, v12, v28
	v_add_f16_e32 v54, v79, v54
	;; [unrolled: 1-line block ×6, first 2 shown]
	v_fma_f16 v27, v27, v1, -v112
	v_fmac_f16_e32 v88, v107, v2
	v_add_f16_e64 v131, v101, v21
	v_add_f16_e64 v157, v97, v86
	v_sub_f16_e64 v150, v90, v87
	v_sub_f16_e64 v137, v82, v23
	v_mul_f16_e64 v25, 0xbb7b, v151
	v_mul_f16_e64 v109, 0xbb7b, v139
	v_mul_f16_e64 v116, 0x394e, v151
	v_mul_f16_e64 v122, 0x394e, v139
	v_mul_f16_e64 v127, 0x3770, v151
	v_mul_f16_e64 v145, 0x3770, v139
	v_fma_f16 v166, 0x2fb7, v132, v80
	v_fma_f16 v167, v158, 0x2fb7, -v108
	v_fma_f16 v168, 0xbbc4, v132, v119
	v_fma_f16 v169, v158, 0xbbc4, -v121
	;; [unrolled: 2-line block ×3, first 2 shown]
	v_add_f16_e32 v28, v95, v28
	v_add_f16_e64 v54, v161, v54
	v_add_f16_e64 v91, v162, v91
	;; [unrolled: 1-line block ×7, first 2 shown]
	v_sub_f16_e64 v149, v89, v88
	v_sub_f16_e64 v136, v27, v24
	v_mul_f16_e64 v26, 0xb94e, v150
	v_mul_f16_e64 v107, 0xb94e, v137
	;; [unrolled: 1-line block ×6, first 2 shown]
	v_fma_f16 v172, 0xb5ac, v131, v25
	v_fma_f16 v173, v157, 0xb5ac, -v109
	v_fma_f16 v174, 0xb9fd, v131, v116
	v_fma_f16 v175, v157, 0xb9fd, -v122
	;; [unrolled: 2-line block ×3, first 2 shown]
	v_add_f16_e64 v28, v166, v28
	v_add_f16_e64 v54, v167, v54
	;; [unrolled: 1-line block ×6, first 2 shown]
	v_add_f16_e32 v124, v27, v24
	v_add_f16_e64 v152, v89, v88
	v_mul_f16_e64 v22, 0xb3a8, v149
	v_mul_f16_e64 v106, 0xb3a8, v136
	;; [unrolled: 1-line block ×6, first 2 shown]
	v_fma_f16 v178, 0xb9fd, v129, v26
	v_fma_f16 v179, v156, 0xb9fd, -v107
	v_fma_f16 v180, 0x2fb7, v129, v113
	v_fma_f16 v181, v156, 0x2fb7, -v123
	;; [unrolled: 2-line block ×3, first 2 shown]
	v_add_f16_e64 v28, v172, v28
	v_add_f16_e64 v54, v173, v54
	;; [unrolled: 1-line block ×6, first 2 shown]
	v_fma_f16 v184, 0xbbc4, v124, v22
	v_fma_f16 v185, v152, 0xbbc4, -v106
	v_fma_f16 v186, 0x3b15, v124, v112
	v_fma_f16 v187, v152, 0x3b15, -v115
	;; [unrolled: 2-line block ×3, first 2 shown]
	v_add_f16_e64 v28, v178, v28
	v_add_f16_e64 v54, v179, v54
	;; [unrolled: 1-line block ×12, first 2 shown]
	v_and_b32_e32 v54, 0xffff, v120
	s_and_saveexec_b32 s1, s0
	s_cbranch_execz .LBB0_9
; %bb.8:
	v_mul_f16_e64 v186, 0xb5ac, v160
	v_mul_f16_e64 v192, 0xb9fd, v159
	;; [unrolled: 1-line block ×5, first 2 shown]
	v_fma_f16 v191, 0x3b7b, v148, v186
	v_fma_f16 v196, 0xb94e, v147, v192
	v_mul_f16_e64 v204, 0x394e, v154
	v_fma_f16 v203, 0xb5ac, v140, v200
	v_mul_f16_e64 v205, 0xbbc4, v156
	v_add_f16_e64 v191, v79, v191
	v_mul_f16_e64 v207, 0x3770, v153
	v_fma_f16 v206, 0xb9fd, v133, v204
	v_add_f16_e64 v203, v12, v203
	v_mul_f16_e64 v208, 0x388b, v152
	v_add_f16_e64 v191, v196, v191
	v_fma_f16 v196, 0xb770, v146, v197
	v_mul_f16_e64 v209, 0xbbf1, v151
	v_add_f16_e64 v203, v206, v203
	v_fma_f16 v206, 0x3b15, v132, v207
	;; [unrolled: 3-line block ×6, first 2 shown]
	v_fma_f16 v214, 0xbbf1, v147, v212
	v_add_f16_e64 v191, v196, v191
	v_fma_f16 v196, 0xba95, v136, v208
	v_mul_f16_e64 v215, 0x388b, v158
	v_add_f16_e64 v203, v206, v203
	v_fma_f16 v206, 0x388b, v124, v213
	v_mul_f16_e64 v216, 0xb94e, v155
	;; [unrolled: 3-line block ×4, first 2 shown]
	v_add_f16_e64 v196, v79, v196
	v_mul_f16_e64 v219, 0x3b15, v156
	v_mul_f16_e64 v221, 0xba95, v153
	v_add_f16_e64 v206, v12, v206
	v_fma_f16 v220, 0x2fb7, v133, v218
	v_add_f16_e64 v196, v214, v196
	v_fma_f16 v214, 0x3a95, v146, v215
	v_mul_f16_e64 v222, 0xb5ac, v152
	v_mul_f16_e64 v223, 0x33a8, v151
	v_add_f16_e64 v206, v220, v206
	v_fma_f16 v220, 0x388b, v132, v221
	v_add_f16_e64 v196, v214, v196
	v_fma_f16 v214, 0xb3a8, v139, v217
	v_mul_f16_e64 v161, 0x3b15, v160
	v_mul_f16_e64 v163, 0x388b, v160
	;; [unrolled: 1-line block ×4, first 2 shown]
	v_add_f16_e64 v196, v214, v196
	v_fma_f16 v214, 0xb770, v137, v219
	v_add_f16_e64 v206, v220, v206
	v_fma_f16 v220, 0xbbc4, v131, v223
	v_mul_f16_e64 v224, 0x3770, v150
	v_mul_f16_e64 v167, 0x388b, v159
	v_add_f16_e64 v196, v214, v196
	v_fma_f16 v214, 0x3b7b, v136, v222
	v_mul_f16_e64 v169, 0xb5ac, v159
	v_mul_f16_e64 v171, 0xbbc4, v159
	;; [unrolled: 1-line block ×3, first 2 shown]
	v_add_f16_e64 v206, v220, v206
	v_add_f16_e64 v196, v214, v196
	v_fma_f16 v214, 0x33a8, v148, v160
	v_fma_f16 v220, 0x3b15, v129, v224
	v_mul_f16_e64 v225, 0xbb7b, v149
	v_mul_f16_e64 v162, 0x388b, v140
	;; [unrolled: 1-line block ×5, first 2 shown]
	v_add_f16_e64 v214, v79, v214
	v_fma_f16 v226, 0xb770, v147, v159
	v_mul_f16_e64 v158, 0xb9fd, v158
	v_add_f16_e64 v206, v220, v206
	v_fma_f16 v220, 0xb5ac, v124, v225
	v_mul_f16_e64 v155, 0xb3a8, v155
	v_fmac_f16_e64 v160, 0xb3a8, v148
	v_mul_f16_e64 v168, 0xb5ac, v133
	v_mul_f16_e64 v179, 0xb5ac, v157
	;; [unrolled: 1-line block ×4, first 2 shown]
	v_add_f16_e64 v214, v226, v214
	v_fma_f16 v226, 0x394e, v146, v158
	v_mul_f16_e64 v157, 0x388b, v157
	v_add_f16_e64 v206, v220, v206
	v_fma_f16 v220, 0xbbc4, v140, v155
	v_mul_f16_e64 v154, 0x3770, v154
	v_add_f16_e64 v160, v79, v160
	v_fmac_f16_e64 v159, 0x3770, v147
	v_sub_f16_e64 v117, v162, v117
	v_mul_f16_e64 v174, 0xbbc4, v132
	v_mul_f16_e64 v185, 0xb9fd, v156
	;; [unrolled: 1-line block ×4, first 2 shown]
	v_add_f16_e64 v214, v226, v214
	v_fma_f16 v226, 0xba95, v139, v157
	v_mul_f16_e64 v156, 0xb5ac, v156
	v_add_f16_e64 v220, v12, v220
	v_fma_f16 v227, 0x3b15, v133, v154
	v_mul_f16_e64 v153, 0xb94e, v153
	v_add_f16_e64 v159, v159, v160
	v_fmac_f16_e64 v158, 0xb94e, v146
	v_fma_f16 v155, v140, 0xbbc4, -v155
	v_add_f16_e32 v117, v12, v117
	v_sub_f16_e64 v118, v168, v118
	v_add_f16_e32 v104, v12, v104
	v_add_f16_e32 v100, v79, v100
	v_mul_f16_e64 v180, 0xb9fd, v131
	v_add_f16_e64 v214, v226, v214
	v_fma_f16 v226, 0x3b7b, v137, v156
	v_add_f16_e64 v220, v227, v220
	v_fma_f16 v227, 0xb9fd, v132, v153
	v_mul_f16_e64 v151, 0x3a95, v151
	v_add_f16_e64 v158, v158, v159
	v_fmac_f16_e64 v157, 0x3a95, v139
	v_add_f16_e64 v155, v12, v155
	v_fma_f16 v154, v133, 0x3b15, -v154
	v_add_f16_e32 v117, v118, v117
	v_sub_f16_e64 v118, v174, v119
	v_add_f16_e32 v103, v104, v103
	v_add_f16_e32 v99, v100, v99
	v_mul_f16_e64 v120, 0x3b15, v140
	v_mul_f16_e64 v164, 0x2fb7, v140
	;; [unrolled: 1-line block ×6, first 2 shown]
	v_add_f16_e64 v214, v226, v214
	v_add_f16_e64 v220, v227, v220
	v_fma_f16 v226, 0x388b, v131, v151
	v_mul_f16_e64 v152, 0x2fb7, v152
	v_add_f16_e64 v157, v157, v158
	v_fmac_f16_e64 v156, 0xbb7b, v137
	v_fmac_f16_e64 v210, 0xb94e, v148
	v_add_f16_e64 v154, v154, v155
	v_fma_f16 v153, v132, 0xb9fd, -v153
	v_fma_f16 v155, v140, 0xb9fd, -v216
	;; [unrolled: 1-line block ×3, first 2 shown]
	v_add_f16_e64 v142, v142, v165
	v_add_f16_e32 v117, v118, v117
	v_sub_f16_e64 v116, v180, v116
	v_add_f16_e32 v102, v103, v102
	v_add_f16_e32 v98, v99, v98
	v_mul_f16_e64 v166, 0x388b, v133
	v_mul_f16_e64 v170, 0xbbc4, v133
	;; [unrolled: 1-line block ×3, first 2 shown]
	v_add_f16_e64 v160, v226, v220
	v_fma_f16 v226, 0xbbf1, v136, v152
	v_add_f16_e64 v156, v156, v157
	v_fmac_f16_e64 v152, 0x3bf1, v136
	v_add_f16_e64 v157, v79, v210
	v_fmac_f16_e64 v212, 0x3bf1, v147
	v_add_f16_e64 v153, v153, v154
	v_fma_f16 v151, v131, 0x388b, -v151
	v_add_f16_e64 v154, v12, v155
	v_fma_f16 v155, v133, 0x2fb7, -v218
	v_fmac_f16_e64 v217, 0x33a8, v139
	v_fmac_f16_e64 v201, 0xbbf1, v139
	v_add_f16_e64 v139, v12, v140
	v_fma_f16 v133, v133, 0xb9fd, -v204
	v_add_f16_e64 v140, v79, v142
	v_add_f16_e64 v142, v143, v171
	v_add_f16_e32 v104, v116, v117
	v_sub_f16_e64 v100, v187, v113
	v_add_f16_e32 v101, v102, v101
	v_add_f16_e32 v97, v98, v97
	v_mul_f16_e64 v172, 0x2fb7, v132
	v_mul_f16_e64 v176, 0xb5ac, v132
	v_fma_f16 v220, 0xb5ac, v129, v150
	v_add_f16_e64 v152, v152, v156
	v_add_f16_e64 v156, v212, v157
	v_fmac_f16_e64 v215, 0xba95, v146
	v_add_f16_e64 v151, v151, v153
	v_fma_f16 v150, v129, 0xb5ac, -v150
	v_add_f16_e64 v153, v155, v154
	v_fma_f16 v154, v132, 0x388b, -v221
	v_fmac_f16_e64 v219, 0x3770, v137
	v_fmac_f16_e64 v186, 0xbb7b, v148
	;; [unrolled: 1-line block ×3, first 2 shown]
	v_add_f16_e64 v133, v133, v139
	v_fma_f16 v132, v132, 0x3b15, -v207
	v_add_f16_e64 v137, v142, v140
	v_add_f16_e64 v139, v144, v177
	;; [unrolled: 1-line block ×3, first 2 shown]
	v_add_f16_e32 v99, v100, v104
	v_add_f16_e64 v100, v111, v161
	v_add_f16_e32 v82, v101, v82
	v_add_f16_e32 v90, v97, v90
	v_mul_f16_e64 v178, 0xb5ac, v131
	v_mul_f16_e64 v182, 0x3b15, v131
	v_add_f16_e64 v156, v215, v156
	v_add_f16_e64 v150, v150, v151
	;; [unrolled: 1-line block ×3, first 2 shown]
	v_fma_f16 v151, v131, 0xbbc4, -v223
	v_fmac_f16_e64 v222, 0xbb7b, v136
	v_add_f16_e64 v154, v79, v186
	v_fmac_f16_e64 v208, 0x3a95, v136
	v_add_f16_e64 v132, v132, v133
	v_fma_f16 v131, v131, 0x2fb7, -v209
	v_add_f16_e64 v133, v139, v137
	v_add_f16_e64 v136, v145, v183
	v_sub_f16_e64 v134, v164, v134
	v_add_f16_e32 v125, v79, v125
	v_sub_f16_e32 v81, v120, v81
	v_add_f16_e32 v79, v79, v100
	v_add_f16_e64 v98, v110, v167
	v_add_f16_e32 v27, v82, v27
	v_add_f16_e32 v82, v90, v89
	v_mul_f16_e64 v184, 0xb9fd, v129
	v_mul_f16_e64 v189, 0x388b, v129
	v_add_f16_e64 v155, v217, v156
	v_fmac_f16_e64 v192, 0x394e, v147
	v_add_f16_e64 v147, v151, v148
	v_fma_f16 v148, v129, 0x3b15, -v224
	v_add_f16_e64 v131, v131, v132
	v_fma_f16 v129, v129, 0xbbc4, -v211
	v_add_f16_e64 v132, v136, v133
	v_add_f16_e64 v133, v141, v190
	v_add_f16_e64 v134, v12, v134
	v_sub_f16_e64 v135, v170, v135
	v_add_f16_e64 v126, v126, v169
	v_add_f16_e32 v12, v12, v81
	v_sub_f16_e64 v81, v166, v105
	v_add_f16_e32 v79, v98, v79
	v_add_f16_e64 v89, v108, v173
	v_add_f16_e32 v24, v27, v24
	v_sub_f16_e64 v27, v172, v80
	v_add_f16_e32 v80, v82, v88
	v_add_f16_e64 v153, v219, v155
	v_add_f16_e64 v129, v129, v131
	;; [unrolled: 1-line block ×4, first 2 shown]
	v_sub_f16_e64 v130, v176, v130
	v_add_f16_e32 v125, v126, v125
	v_add_f16_e64 v121, v121, v175
	v_add_f16_e32 v12, v81, v12
	v_add_f16_e32 v79, v89, v79
	v_add_f16_e64 v81, v109, v179
	v_add_f16_e32 v23, v24, v23
	v_add_f16_e32 v24, v80, v87
	v_add_f16_e64 v151, v222, v153
	v_add_f16_e64 v153, v192, v154
	v_fmac_f16_e64 v197, 0x3770, v146
	v_add_f16_e64 v130, v130, v132
	v_sub_f16_e64 v127, v182, v127
	v_add_f16_e32 v121, v121, v125
	v_add_f16_e64 v122, v122, v181
	v_add_f16_e32 v12, v27, v12
	v_sub_f16_e64 v25, v178, v25
	v_add_f16_e32 v27, v81, v79
	v_add_f16_e32 v21, v23, v21
	v_add_f16_e64 v23, v107, v185
	v_add_f16_e32 v24, v24, v86
	v_mul_f16_e64 v193, 0xbbc4, v124
	v_mul_f16_e64 v195, 0x3b15, v124
	;; [unrolled: 1-line block ×3, first 2 shown]
	v_add_f16_e64 v146, v148, v147
	v_add_f16_e64 v148, v197, v153
	;; [unrolled: 1-line block ×3, first 2 shown]
	v_sub_f16_e64 v127, v189, v128
	v_add_f16_e32 v121, v122, v121
	v_add_f16_e64 v122, v123, v188
	v_add_f16_e32 v12, v25, v12
	v_sub_f16_e64 v25, v184, v26
	v_add_f16_e32 v15, v21, v15
	v_add_f16_e32 v21, v23, v27
	;; [unrolled: 1-line block ×3, first 2 shown]
	v_mul_f16_e64 v149, 0x3bf1, v149
	v_add_f16_e64 v143, v201, v148
	v_add_f16_e64 v133, v138, v202
	v_add_f16_e32 v125, v127, v126
	v_add_f16_e32 v118, v122, v121
	v_add_f16_e64 v115, v115, v198
	v_sub_f16_e64 v113, v199, v114
	v_sub_f16_e64 v102, v195, v112
	v_add_f16_e64 v24, v106, v194
	v_add_f16_e32 v12, v25, v12
	v_add_f16_e32 v14, v15, v14
	v_mul_u32_u24_e32 v15, 0x4e, v54
	v_add_f16_e32 v23, v23, v84
	v_sub_f16_e64 v22, v193, v22
	v_add_f16_e64 v159, v220, v160
	v_fma_f16 v160, 0x2fb7, v124, v149
	v_fma_f16 v149, v124, 0x2fb7, -v149
	v_fma_f16 v147, v124, 0xb5ac, -v225
	v_add_f16_e64 v140, v205, v143
	v_fma_f16 v124, v124, 0x388b, -v213
	v_add_f16_e64 v119, v133, v131
	v_add_f16_e32 v103, v115, v118
	v_add_f16_e32 v21, v24, v21
	;; [unrolled: 1-line block ×3, first 2 shown]
	v_add_nc_u32_e32 v14, v15, v52
	v_add_f16_e32 v15, v23, v83
	v_add_f16_e32 v12, v22, v12
	;; [unrolled: 1-line block ×4, first 2 shown]
	v_add_f16_e64 v137, v208, v140
	v_lshl_add_u32 v14, v14, 2, v51
	v_pack_b32_f16 v13, v13, v15
	v_pack_b32_f16 v12, v12, v21
	;; [unrolled: 1-line block ×4, first 2 shown]
	v_add_f16_e64 v22, v124, v129
	v_add_f16_e64 v23, v147, v146
	;; [unrolled: 1-line block ×5, first 2 shown]
	ds_store_2addr_b32 v14, v13, v12 offset1:6
	ds_store_2addr_b32 v14, v15, v21 offset0:12 offset1:18
	v_pack_b32_f16 v12, v22, v137
	v_pack_b32_f16 v13, v23, v151
	;; [unrolled: 1-line block ×6, first 2 shown]
	v_perm_b32 v24, v96, v95, 0x5040100
	v_perm_b32 v25, v94, v28, 0x5040100
	;; [unrolled: 1-line block ×3, first 2 shown]
	ds_store_2addr_b32 v14, v12, v13 offset0:24 offset1:30
	ds_store_2addr_b32 v14, v15, v21 offset0:36 offset1:42
	;; [unrolled: 1-line block ×4, first 2 shown]
	ds_store_b32 v14, v26 offset:288
.LBB0_9:
	s_wait_alu 0xfffe
	s_or_b32 exec_lo, exec_lo, s1
	v_lshlrev_b32_e32 v22, 4, v42
	global_wb scope:SCOPE_SE
	s_wait_dscnt 0x0
	s_barrier_signal -1
	s_barrier_wait -1
	global_inv scope:SCOPE_SE
	global_load_b128 v[12:15], v22, s[10:11] offset:304
	v_add_nc_u32_e32 v23, 0x400, v43
	v_add_nc_u32_e32 v21, 0x600, v43
	;; [unrolled: 1-line block ×3, first 2 shown]
	ds_load_2addr_b32 v[25:26], v43 offset1:78
	ds_load_2addr_b32 v[79:80], v43 offset0:156 offset1:234
	ds_load_2addr_b32 v[81:82], v23 offset0:56 offset1:134
	;; [unrolled: 1-line block ×4, first 2 shown]
	v_mul_i32_i24_e32 v83, -12, v42
	v_add_co_u32 v22, s1, s10, v22
	v_mul_hi_i32_i24_e32 v27, -12, v42
	s_wait_alu 0xf1ff
	v_add_co_ci_u32_e64 v84, null, s11, 0, s1
	s_delay_alu instid0(VALU_DEP_3)
	v_add_co_u32 v99, s1, v22, v83
	global_wb scope:SCOPE_SE
	s_wait_loadcnt_dscnt 0x0
	s_wait_alu 0xf1ff
	v_add_co_ci_u32_e64 v100, s1, v84, v27, s1
	s_barrier_signal -1
	s_barrier_wait -1
	global_inv scope:SCOPE_SE
	s_add_nc_u64 s[8:9], s[8:9], 0xc30
	v_lshrrev_b32_e32 v22, 16, v25
	v_lshrrev_b32_e32 v27, 16, v79
	;; [unrolled: 1-line block ×14, first 2 shown]
	s_delay_alu instid0(VALU_DEP_4)
	v_mul_f16_e32 v107, v27, v90
	v_mul_f16_e32 v108, v79, v90
	;; [unrolled: 1-line block ×16, first 2 shown]
	v_fma_f16 v79, v79, v12, -v107
	v_fmac_f16_e32 v108, v27, v12
	v_fma_f16 v27, v81, v13, -v109
	v_fmac_f16_e32 v110, v101, v13
	;; [unrolled: 2-line block ×8, first 2 shown]
	v_add_f16_e32 v97, v25, v79
	v_add_f16_e32 v98, v27, v81
	v_sub_f16_e32 v103, v79, v27
	v_sub_f16_e32 v104, v85, v81
	v_add_f16_e32 v105, v79, v85
	v_add_f16_e32 v109, v22, v108
	;; [unrolled: 1-line block ×4, first 2 shown]
	v_sub_f16_e32 v101, v108, v114
	v_sub_f16_e32 v106, v27, v79
	;; [unrolled: 1-line block ×7, first 2 shown]
	v_add_f16_e32 v123, v26, v80
	v_add_f16_e32 v124, v82, v86
	v_add_f16_e64 v129, v80, v87
	v_add_f16_e64 v132, v83, v116
	;; [unrolled: 1-line block ×4, first 2 shown]
	v_sub_f16_e32 v79, v79, v85
	v_sub_f16_e32 v113, v27, v81
	v_add_f16_e32 v27, v97, v27
	v_fma_f16 v97, -0.5, v98, v25
	v_add_f16_e32 v98, v103, v104
	v_fma_f16 v25, -0.5, v105, v25
	;; [unrolled: 2-line block ×3, first 2 shown]
	v_sub_f16_e32 v102, v110, v112
	v_fmac_f16_e32 v22, -0.5, v119
	v_sub_f16_e32 v125, v116, v122
	v_sub_f16_e32 v126, v118, v120
	;; [unrolled: 1-line block ×3, first 2 shown]
	v_sub_f16_e64 v130, v82, v80
	v_sub_f16_e32 v80, v80, v87
	v_sub_f16_e64 v134, v82, v86
	v_add_f16_e32 v103, v106, v107
	v_add_f16_e32 v106, v115, v117
	;; [unrolled: 1-line block ×4, first 2 shown]
	v_fma_f16 v108, -0.5, v124, v26
	v_fmac_f16_e64 v26, -0.5, v129
	v_add_f16_e64 v111, v132, v118
	v_fma_f16 v115, -0.5, v133, v83
	v_fmac_f16_e64 v83, -0.5, v137
	v_add_f16_e32 v27, v27, v81
	v_fmamk_f16 v81, v101, 0x3b9c, v97
	v_add_f16_e32 v104, v104, v112
	v_fmamk_f16 v112, v79, 0xbb9c, v105
	v_sub_f16_e64 v135, v116, v118
	v_sub_f16_e32 v116, v118, v116
	v_fmamk_f16 v118, v102, 0xbb9c, v25
	v_fmac_f16_e32 v25, 0x3b9c, v102
	v_fmamk_f16 v119, v113, 0x3b9c, v22
	v_fmac_f16_e32 v22, 0xbb9c, v113
	v_fmac_f16_e32 v97, 0xbb9c, v101
	;; [unrolled: 1-line block ×3, first 2 shown]
	v_sub_f16_e64 v128, v87, v86
	v_sub_f16_e64 v131, v86, v87
	v_sub_f16_e64 v136, v122, v120
	v_sub_f16_e64 v138, v120, v122
	v_add_f16_e32 v82, v82, v86
	v_fmamk_f16 v86, v125, 0x3b9c, v108
	v_fmamk_f16 v121, v126, 0xbb9c, v26
	v_add_f16_e32 v111, v111, v120
	v_fmamk_f16 v120, v80, 0xbb9c, v115
	v_fma_f16 v123, 0x3b9c, v134, v83
	v_fmac_f16_e32 v108, 0xbb9c, v125
	v_fmac_f16_e32 v26, 0x3b9c, v126
	;; [unrolled: 1-line block ×3, first 2 shown]
	v_fmac_f16_e64 v83, 0xbb9c, v134
	v_fmac_f16_e32 v81, 0x38b4, v102
	v_fmac_f16_e32 v112, 0xb8b4, v113
	;; [unrolled: 1-line block ×8, first 2 shown]
	v_add_f16_e64 v109, v127, v128
	v_add_f16_e64 v110, v130, v131
	;; [unrolled: 1-line block ×4, first 2 shown]
	v_fmac_f16_e32 v86, 0x38b4, v126
	v_fmac_f16_e32 v121, 0x38b4, v125
	v_fmac_f16_e64 v120, 0xb8b4, v134
	v_fmac_f16_e32 v123, 0xb8b4, v80
	v_fmac_f16_e32 v108, 0xb8b4, v126
	;; [unrolled: 1-line block ×3, first 2 shown]
	v_fmac_f16_e64 v115, 0x38b4, v134
	v_fmac_f16_e32 v83, 0x38b4, v80
	v_add_f16_e32 v27, v27, v85
	v_add_f16_e32 v85, v104, v114
	v_fmac_f16_e32 v81, 0x34f2, v98
	v_fmac_f16_e32 v112, 0x34f2, v106
	;; [unrolled: 1-line block ×6, first 2 shown]
	v_add_f16_e32 v79, v82, v87
	v_add_f16_e32 v82, v111, v122
	v_fmac_f16_e32 v97, 0x34f2, v98
	v_fmac_f16_e32 v105, 0x34f2, v106
	;; [unrolled: 1-line block ×10, first 2 shown]
	v_pack_b32_f16 v27, v27, v85
	v_pack_b32_f16 v80, v81, v112
	;; [unrolled: 1-line block ×10, first 2 shown]
	ds_store_2addr_b32 v43, v27, v80 offset1:78
	ds_store_2addr_b32 v43, v81, v22 offset0:156 offset1:234
	ds_store_2addr_b32 v23, v25, v79 offset0:56 offset1:134
	;; [unrolled: 1-line block ×4, first 2 shown]
	global_wb scope:SCOPE_SE
	s_wait_dscnt 0x0
	s_barrier_signal -1
	s_barrier_wait -1
	global_inv scope:SCOPE_SE
	s_clause 0x4
	global_load_b32 v80, v[99:100], off offset:1552
	global_load_b32 v83, v[99:100], off offset:1864
	;; [unrolled: 1-line block ×5, first 2 shown]
	ds_load_2addr_b32 v[25:26], v43 offset1:78
	ds_load_2addr_b32 v[98:99], v23 offset0:56 offset1:134
	ds_load_2addr_b32 v[100:101], v21 offset0:84 offset1:162
	;; [unrolled: 1-line block ×4, first 2 shown]
	v_lshl_add_u32 v97, v66, 2, v63
	v_lshlrev_b32_e32 v22, 2, v42
	s_delay_alu instid0(VALU_DEP_2)
	v_add_nc_u32_e32 v27, 0x800, v97
	s_wait_dscnt 0x4
	v_lshrrev_b32_e32 v106, 16, v25
	s_wait_dscnt 0x3
	v_lshrrev_b32_e32 v107, 16, v99
	;; [unrolled: 2-line block ×3, first 2 shown]
	v_lshrrev_b32_e32 v111, 16, v101
	s_wait_dscnt 0x0
	v_lshrrev_b32_e32 v113, 16, v104
	v_lshrrev_b32_e32 v115, 16, v105
	;; [unrolled: 1-line block ×6, first 2 shown]
	s_wait_loadcnt 0x4
	v_lshrrev_b32_e32 v87, 16, v80
	s_wait_loadcnt 0x3
	v_lshrrev_b32_e32 v86, 16, v83
	;; [unrolled: 2-line block ×5, first 2 shown]
	v_mul_f16_e32 v116, v107, v87
	v_mul_f16_e32 v117, v99, v87
	;; [unrolled: 1-line block ×10, first 2 shown]
	v_fma_f16 v99, v99, v80, -v116
	v_fmac_f16_e32 v117, v107, v80
	v_fma_f16 v100, v100, v83, -v118
	v_fmac_f16_e32 v119, v109, v83
	;; [unrolled: 2-line block ×5, first 2 shown]
	v_sub_f16_e32 v99, v25, v99
	v_sub_f16_e32 v107, v106, v117
	;; [unrolled: 1-line block ×10, first 2 shown]
	v_fma_f16 v25, v25, 2.0, -v99
	v_fma_f16 v106, v106, 2.0, -v107
	;; [unrolled: 1-line block ×10, first 2 shown]
	v_pack_b32_f16 v99, v99, v107
	v_pack_b32_f16 v25, v25, v106
	;; [unrolled: 1-line block ×10, first 2 shown]
	ds_store_b32 v43, v99 offset:1560
	ds_store_2addr_b32 v43, v25, v26 offset1:78
	ds_store_2addr_b32 v43, v102, v103 offset0:156 offset1:234
	ds_store_2addr_b32 v27, v101, v104 offset0:34 offset1:112
	ds_store_b32 v43, v98 offset:1248
	ds_store_b32 v43, v100 offset:1872
	;; [unrolled: 1-line block ×3, first 2 shown]
	global_wb scope:SCOPE_SE
	s_wait_dscnt 0x0
	s_barrier_signal -1
	s_barrier_wait -1
	global_inv scope:SCOPE_SE
	s_clause 0x9
	global_load_b32 v27, v[19:20], off offset:3120
	global_load_b32 v104, v22, s[8:9] offset:1560
	global_load_b32 v105, v22, s[8:9] offset:312
	;; [unrolled: 1-line block ×9, first 2 shown]
	ds_load_2addr_b32 v[19:20], v43 offset1:78
	ds_load_2addr_b32 v[25:26], v23 offset0:56 offset1:134
	ds_load_2addr_b32 v[98:99], v21 offset0:84 offset1:162
	;; [unrolled: 1-line block ×4, first 2 shown]
	s_wait_dscnt 0x4
	v_lshrrev_b32_e32 v112, 16, v19
	v_lshrrev_b32_e32 v114, 16, v20
	s_wait_dscnt 0x3
	v_lshrrev_b32_e32 v113, 16, v26
	s_wait_dscnt 0x2
	;; [unrolled: 2-line block ×3, first 2 shown]
	v_lshrrev_b32_e32 v116, 16, v100
	v_lshrrev_b32_e32 v117, 16, v99
	;; [unrolled: 1-line block ×4, first 2 shown]
	s_wait_dscnt 0x0
	v_lshrrev_b32_e32 v119, 16, v102
	v_lshrrev_b32_e32 v121, 16, v103
	s_wait_loadcnt 0x9
	v_lshrrev_b32_e32 v122, 16, v27
	s_wait_loadcnt 0x8
	;; [unrolled: 2-line block ×10, first 2 shown]
	v_lshrrev_b32_e32 v131, 16, v22
	v_mul_f16_e64 v132, v112, v122
	v_mul_f16_e32 v122, v19, v122
	v_mul_f16_e64 v134, v114, v124
	v_mul_f16_e32 v124, v20, v124
	;; [unrolled: 2-line block ×6, first 2 shown]
	v_mul_f16_e64 v138, v118, v128
	v_mul_f16_e64 v128, v101, v128
	;; [unrolled: 1-line block ×8, first 2 shown]
	v_fma_f16 v19, v19, v27, -v132
	v_fmac_f16_e32 v122, v112, v27
	v_fma_f16 v20, v20, v105, -v134
	v_fmac_f16_e32 v124, v114, v105
	;; [unrolled: 2-line block ×6, first 2 shown]
	v_fma_f16 v100, v101, v109, -v138
	v_fmac_f16_e64 v128, v118, v109
	v_fma_f16 v25, v25, v111, -v140
	v_fmac_f16_e64 v130, v120, v111
	;; [unrolled: 2-line block ×4, first 2 shown]
	v_pack_b32_f16 v19, v19, v122
	v_pack_b32_f16 v20, v20, v124
	;; [unrolled: 1-line block ×10, first 2 shown]
	ds_store_2addr_b32 v43, v19, v20 offset1:78
	ds_store_2addr_b32 v21, v26, v98 offset0:84 offset1:162
	ds_store_2addr_b32 v43, v27, v99 offset0:156 offset1:234
	;; [unrolled: 1-line block ×4, first 2 shown]
	global_wb scope:SCOPE_SE
	s_wait_dscnt 0x0
	s_barrier_signal -1
	s_barrier_wait -1
	global_inv scope:SCOPE_SE
	ds_load_2addr_b32 v[19:20], v23 offset0:56 offset1:134
	ds_load_2addr_b32 v[25:26], v43 offset1:78
	ds_load_2addr_b32 v[21:22], v21 offset0:84 offset1:162
	ds_load_2addr_b32 v[98:99], v43 offset0:156 offset1:234
	;; [unrolled: 1-line block ×3, first 2 shown]
	v_add_nc_u32_e32 v105, 0x200, v43
	global_wb scope:SCOPE_SE
	s_wait_dscnt 0x0
	s_barrier_signal -1
	s_barrier_wait -1
	global_inv scope:SCOPE_SE
	v_pk_add_f16 v102, v25, v20 neg_lo:[0,1] neg_hi:[0,1]
	v_pk_add_f16 v21, v26, v21 neg_lo:[0,1] neg_hi:[0,1]
	;; [unrolled: 1-line block ×5, first 2 shown]
	v_pk_fma_f16 v101, v25, 2.0, v102 op_sel_hi:[1,0,1] neg_lo:[0,0,1] neg_hi:[0,0,1]
	v_pk_fma_f16 v20, v26, 2.0, v21 op_sel_hi:[1,0,1] neg_lo:[0,0,1] neg_hi:[0,0,1]
	;; [unrolled: 1-line block ×5, first 2 shown]
	ds_store_b64 v55, v[101:102]
	ds_store_b64 v56, v[20:21]
	;; [unrolled: 1-line block ×5, first 2 shown]
	global_wb scope:SCOPE_SE
	s_wait_dscnt 0x0
	s_barrier_signal -1
	s_barrier_wait -1
	global_inv scope:SCOPE_SE
	ds_load_2addr_b32 v[19:20], v43 offset1:78
	ds_load_2addr_b32 v[21:22], v105 offset0:28 offset1:132
	ds_load_2addr_b32 v[25:26], v24 offset0:8 offset1:86
	;; [unrolled: 1-line block ×3, first 2 shown]
	ds_load_b32 v55, v43 offset:2704
	s_and_saveexec_b32 s1, vcc_lo
	s_cbranch_execz .LBB0_11
; %bb.10:
	ds_load_b32 v95, v43 offset:1976
	ds_load_b32 v28, v43 offset:3016
	;; [unrolled: 1-line block ×3, first 2 shown]
	s_wait_dscnt 0x2
	v_lshrrev_b32_e32 v96, 16, v95
	s_wait_dscnt 0x1
	v_lshrrev_b32_e32 v94, 16, v28
.LBB0_11:
	s_wait_alu 0xfffe
	s_or_b32 exec_lo, exec_lo, s1
	s_wait_dscnt 0x3
	v_lshrrev_b32_e32 v56, 16, v22
	s_wait_dscnt 0x2
	v_lshrrev_b32_e32 v57, 16, v25
	;; [unrolled: 2-line block ×3, first 2 shown]
	v_mul_f16_e32 v103, v65, v22
	v_lshrrev_b32_e32 v102, 16, v24
	v_mul_f16_e32 v101, v65, v56
	v_mul_f16_e32 v105, v64, v57
	v_lshrrev_b32_e32 v100, 16, v26
	v_fma_f16 v56, v17, v56, -v103
	v_mul_f16_e32 v103, v65, v58
	v_fmac_f16_e32 v101, v17, v22
	v_mul_f16_e32 v22, v64, v25
	v_fmac_f16_e32 v105, v18, v25
	v_mul_f16_e32 v25, v65, v23
	s_wait_dscnt 0x0
	v_lshrrev_b32_e32 v104, 16, v55
	v_fmac_f16_e32 v103, v17, v23
	v_mul_f16_e32 v23, v64, v26
	v_mul_f16_e32 v107, v65, v102
	v_fma_f16 v58, v17, v58, -v25
	v_mul_f16_e32 v25, v65, v24
	v_mul_f16_e32 v106, v64, v100
	v_fma_f16 v23, v18, v100, -v23
	v_mul_f16_e32 v100, v64, v104
	v_fmac_f16_e32 v107, v17, v24
	v_mul_f16_e32 v24, v64, v55
	v_fma_f16 v102, v17, v102, -v25
	v_mul_f16_e32 v108, v65, v96
	v_mul_f16_e32 v25, v65, v95
	v_lshrrev_b32_e32 v99, 16, v19
	v_fma_f16 v22, v18, v57, -v22
	v_fmac_f16_e32 v100, v18, v55
	v_fma_f16 v55, v18, v104, -v24
	v_mul_f16_e32 v104, v64, v94
	v_fmac_f16_e32 v108, v17, v95
	v_mul_f16_e32 v24, v64, v28
	v_fma_f16 v109, v17, v96, -v25
	v_add_f16_e32 v17, v101, v105
	v_fmac_f16_e32 v106, v18, v26
	v_fmac_f16_e32 v104, v18, v28
	v_add_f16_e32 v26, v19, v101
	v_fma_f16 v110, v18, v94, -v24
	v_add_f16_e32 v18, v56, v22
	v_fma_f16 v25, -0.5, v17, v19
	v_sub_f16_e32 v19, v56, v22
	v_add_f16_e32 v24, v99, v56
	v_lshrrev_b32_e32 v93, 16, v20
	v_add_f16_e32 v17, v26, v105
	v_fmac_f16_e32 v99, -0.5, v18
	v_sub_f16_e32 v26, v101, v105
	v_fmamk_f16 v18, v19, 0xbaee, v25
	v_fmac_f16_e32 v25, 0x3aee, v19
	v_add_f16_e32 v57, v24, v22
	v_add_f16_e32 v19, v103, v106
	;; [unrolled: 1-line block ×3, first 2 shown]
	v_lshrrev_b32_e32 v98, 16, v21
	v_fmamk_f16 v64, v26, 0x3aee, v99
	v_fmac_f16_e32 v99, 0xbaee, v26
	v_add_f16_e32 v24, v58, v23
	v_fmac_f16_e32 v20, -0.5, v19
	v_sub_f16_e32 v28, v58, v23
	v_add_f16_e32 v26, v22, v106
	v_add_f16_e32 v22, v93, v58
	v_fmac_f16_e32 v93, -0.5, v24
	v_sub_f16_e32 v24, v103, v106
	v_fmamk_f16 v19, v28, 0xbaee, v20
	v_fmac_f16_e32 v20, 0x3aee, v28
	v_add_f16_e32 v65, v22, v23
	v_add_f16_e32 v22, v107, v100
	;; [unrolled: 1-line block ×4, first 2 shown]
	v_fmamk_f16 v96, v24, 0x3aee, v93
	v_fmac_f16_e32 v93, 0xbaee, v24
	v_add_f16_e32 v24, v21, v107
	v_fmac_f16_e32 v21, -0.5, v22
	v_sub_f16_e32 v22, v102, v55
	v_fmac_f16_e32 v98, -0.5, v23
	v_sub_f16_e32 v56, v107, v100
	v_add_f16_e32 v94, v28, v55
	v_lshrrev_b32_e32 v101, 16, v27
	v_add_f16_e32 v55, v109, v110
	v_add_f16_e32 v23, v24, v100
	v_fmamk_f16 v24, v22, 0xbaee, v21
	v_fmac_f16_e32 v21, 0x3aee, v22
	v_fmamk_f16 v95, v56, 0x3aee, v98
	v_add_f16_e32 v22, v108, v104
	v_fmac_f16_e32 v98, 0xbaee, v56
	v_add_f16_e32 v56, v108, v27
	v_add_f16_e32 v100, v109, v101
	v_fmac_f16_e32 v101, -0.5, v55
	v_sub_f16_e32 v55, v108, v104
	v_fma_f16 v28, -0.5, v22, v27
	v_sub_f16_e32 v58, v109, v110
	v_add_f16_e32 v22, v56, v104
	v_pack_b32_f16 v56, v18, v64
	v_fmamk_f16 v102, v55, 0x3aee, v101
	v_fmac_f16_e32 v101, 0xbaee, v55
	v_pack_b32_f16 v55, v17, v57
	v_fmamk_f16 v27, v58, 0xbaee, v28
	v_fmac_f16_e32 v28, 0x3aee, v58
	v_add_f16_e32 v100, v110, v100
	global_wb scope:SCOPE_SE
	s_barrier_signal -1
	s_barrier_wait -1
	global_inv scope:SCOPE_SE
	ds_store_2addr_b32 v61, v55, v56 offset1:2
	v_pack_b32_f16 v55, v25, v99
	v_pack_b32_f16 v56, v26, v65
	;; [unrolled: 1-line block ×7, first 2 shown]
	ds_store_b32 v61, v55 offset:16
	ds_store_2addr_b32 v62, v56, v58 offset1:2
	ds_store_b32 v62, v103 offset:16
	ds_store_2addr_b32 v60, v104, v105 offset1:2
	ds_store_b32 v60, v106 offset:16
	s_and_saveexec_b32 s1, vcc_lo
	s_cbranch_execz .LBB0_13
; %bb.12:
	v_mul_u32_u24_e32 v55, 6, v59
	v_perm_b32 v56, v102, v27, 0x5040100
	v_perm_b32 v58, v101, v28, 0x5040100
	s_delay_alu instid0(VALU_DEP_3) | instskip(SKIP_1) | instid1(VALU_DEP_2)
	v_or_b32_e32 v53, v55, v53
	v_perm_b32 v55, v100, v22, 0x5040100
	v_lshl_add_u32 v53, v53, 2, v51
	ds_store_2addr_b32 v53, v55, v56 offset1:2
	ds_store_b32 v53, v58 offset:16
.LBB0_13:
	s_wait_alu 0xfffe
	s_or_b32 exec_lo, exec_lo, s1
	global_wb scope:SCOPE_SE
	s_wait_dscnt 0x0
	s_barrier_signal -1
	s_barrier_wait -1
	global_inv scope:SCOPE_SE
	s_and_saveexec_b32 s1, s0
	s_cbranch_execz .LBB0_15
; %bb.14:
	v_add_nc_u32_e32 v19, 0x200, v43
	v_add_nc_u32_e32 v21, 0x400, v43
	;; [unrolled: 1-line block ×4, first 2 shown]
	ds_load_2addr_b32 v[17:18], v43 offset1:60
	ds_load_2addr_b32 v[25:26], v43 offset0:120 offset1:180
	ds_load_2addr_b32 v[19:20], v19 offset0:112 offset1:172
	;; [unrolled: 1-line block ×5, first 2 shown]
	ds_load_b32 v91, v43 offset:2880
	s_wait_dscnt 0x6
	v_lshrrev_b32_e32 v57, 16, v17
	v_lshrrev_b32_e32 v64, 16, v18
	s_wait_dscnt 0x5
	v_lshrrev_b32_e32 v99, 16, v25
	v_lshrrev_b32_e32 v65, 16, v26
	;; [unrolled: 3-line block ×6, first 2 shown]
	s_wait_dscnt 0x0
	v_lshrrev_b32_e32 v92, 16, v91
.LBB0_15:
	s_wait_alu 0xfffe
	s_or_b32 exec_lo, exec_lo, s1
	v_add_nc_u32_e32 v53, 0x270, v97
	v_add_nc_u32_e32 v55, 0x3a8, v97
	;; [unrolled: 1-line block ×3, first 2 shown]
	global_wb scope:SCOPE_SE
	s_barrier_signal -1
	s_barrier_wait -1
	global_inv scope:SCOPE_SE
	s_and_saveexec_b32 s1, s0
	s_cbranch_execz .LBB0_17
; %bb.16:
	v_mul_f16_e32 v60, v77, v64
	v_mul_f16_e32 v58, v78, v92
	;; [unrolled: 1-line block ×5, first 2 shown]
	v_fmac_f16_e32 v60, v4, v18
	v_fmac_f16_e32 v58, v11, v91
	v_mul_f16_e32 v59, v76, v101
	v_fma_f16 v18, v11, v92, -v61
	v_fma_f16 v61, v4, v64, -v77
	v_mul_f16_e32 v64, v76, v28
	v_sub_f16_e32 v11, v60, v58
	v_fmac_f16_e32 v62, v5, v25
	v_fmac_f16_e32 v59, v10, v28
	v_mul_f16_e32 v75, v75, v25
	v_mul_f16_e32 v25, v74, v102
	v_add_f16_e32 v78, v18, v61
	v_mul_f16_e32 v92, 0xbb7b, v11
	v_mul_f16_e32 v28, v73, v65
	v_sub_f16_e32 v4, v62, v59
	v_fma_f16 v10, v10, v101, -v64
	v_fma_f16 v64, v5, v99, -v75
	v_fmac_f16_e32 v25, v9, v27
	v_mul_f16_e32 v27, v74, v27
	v_fmamk_f16 v76, v78, 0xb5ac, v92
	v_fmac_f16_e32 v28, v6, v26
	v_mul_f16_e32 v73, v73, v26
	v_mul_f16_e32 v97, 0x394e, v4
	v_add_f16_e32 v99, v10, v64
	v_fma_f16 v26, v9, v102, -v27
	v_mul_f16_e32 v74, v71, v96
	v_mul_f16_e32 v27, v72, v100
	v_sub_f16_e32 v5, v28, v25
	v_fma_f16 v73, v6, v65, -v73
	v_add_f16_e32 v6, v57, v76
	v_fmamk_f16 v9, v99, 0xb9fd, v97
	v_fmac_f16_e32 v74, v7, v19
	v_fmac_f16_e32 v27, v8, v22
	v_mul_f16_e32 v22, v72, v22
	v_mul_f16_e32 v19, v71, v19
	;; [unrolled: 1-line block ×5, first 2 shown]
	v_add_f16_e32 v102, v26, v73
	v_add_f16_e32 v9, v9, v6
	v_sub_f16_e32 v6, v74, v27
	v_fma_f16 v65, v8, v100, -v22
	v_fma_f16 v75, v7, v96, -v19
	v_fmac_f16_e32 v72, v0, v20
	v_fmac_f16_e32 v71, v3, v21
	v_mul_f16_e32 v8, v70, v21
	v_mul_f16_e32 v19, v69, v20
	v_fmamk_f16 v76, v102, 0x3b15, v101
	v_mul_f16_e32 v96, 0xbbf1, v6
	v_add_f16_e32 v100, v65, v75
	v_sub_f16_e32 v7, v72, v71
	v_fma_f16 v69, v3, v98, -v8
	v_fma_f16 v70, v0, v93, -v19
	v_add_f16_e32 v0, v76, v9
	v_fmamk_f16 v3, v100, 0x2fb7, v96
	v_mul_f16_e32 v93, 0x33a8, v7
	v_mul_f16_e32 v77, v67, v94
	v_add_f16_e32 v91, v69, v70
	v_mul_f16_e32 v76, v68, v95
	v_add_f16_e32 v0, v3, v0
	v_sub_f16_e32 v98, v61, v18
	v_fmac_f16_e32 v77, v1, v23
	v_fmamk_f16 v3, v91, 0xbbc4, v93
	v_fmac_f16_e32 v76, v2, v24
	v_sub_f16_e32 v104, v64, v10
	v_mul_f16_e32 v103, 0xbb7b, v98
	v_mul_f16_e32 v9, v68, v24
	v_add_f16_e32 v19, v3, v0
	v_add_f16_e32 v3, v58, v60
	v_mul_f16_e32 v20, v67, v23
	v_sub_f16_e32 v0, v77, v76
	v_add_f16_e32 v8, v59, v62
	v_mul_f16_e32 v67, 0x394e, v104
	v_fma_f16 v21, v3, 0xb5ac, -v103
	v_fma_f16 v68, v2, v95, -v9
	v_sub_f16_e32 v95, v73, v26
	v_fma_f16 v94, v1, v94, -v20
	v_fma_f16 v9, v8, 0xb9fd, -v67
	v_add_f16_e32 v1, v17, v21
	v_add_f16_e32 v2, v25, v28
	v_mul_f16_e32 v105, 0x3770, v95
	v_mul_f16_e32 v106, 0x3a95, v0
	v_sub_f16_e32 v107, v75, v65
	v_add_f16_e32 v108, v68, v94
	v_add_f16_e32 v1, v9, v1
	v_fma_f16 v20, v2, 0x3b15, -v105
	v_add_f16_e32 v9, v27, v74
	v_mul_f16_e32 v109, 0xbbf1, v107
	v_fmamk_f16 v21, v108, 0x388b, v106
	v_sub_f16_e32 v110, v70, v69
	v_add_f16_e32 v20, v20, v1
	v_sub_f16_e32 v113, v94, v68
	v_fma_f16 v22, v9, 0x2fb7, -v109
	v_add_f16_e32 v1, v21, v19
	v_add_f16_e32 v19, v71, v72
	v_mul_f16_e32 v112, 0x33a8, v110
	v_mul_f16_e32 v111, 0xb94e, v11
	v_add_f16_e32 v21, v22, v20
	v_add_f16_e32 v20, v76, v77
	v_mul_f16_e32 v115, 0x3a95, v113
	v_fma_f16 v23, v19, 0xbbc4, -v112
	v_fmamk_f16 v22, v78, 0xb9fd, v111
	v_mul_f16_e32 v114, 0x3bf1, v4
	v_mul_f16_e32 v117, 0xb94e, v98
	;; [unrolled: 1-line block ×3, first 2 shown]
	v_add_f16_e32 v21, v23, v21
	v_fma_f16 v23, v20, 0x388b, -v115
	v_add_f16_e32 v22, v57, v22
	v_fmamk_f16 v24, v99, 0x2fb7, v114
	v_mul_f16_e32 v119, 0x3bf1, v104
	v_fma_f16 v92, v78, 0xb5ac, -v92
	v_add_f16_e32 v21, v23, v21
	v_fma_f16 v23, v3, 0xb9fd, -v117
	v_fmac_f16_e32 v117, 0xb9fd, v3
	v_add_f16_e32 v22, v24, v22
	v_fmamk_f16 v24, v102, 0x388b, v116
	v_mul_f16_e32 v118, 0x33a8, v6
	v_add_f16_e32 v23, v17, v23
	v_fma_f16 v121, v8, 0x2fb7, -v119
	v_mul_f16_e32 v122, 0xba95, v95
	v_fma_f16 v111, v78, 0xb9fd, -v111
	v_add_f16_e32 v117, v17, v117
	v_fmac_f16_e32 v119, 0x2fb7, v8
	v_add_f16_e32 v92, v57, v92
	v_fma_f16 v97, v99, 0xb9fd, -v97
	v_add_f16_e32 v22, v24, v22
	v_fmamk_f16 v24, v100, 0xbbc4, v118
	v_mul_f16_e32 v120, 0x3770, v7
	v_add_f16_e32 v23, v121, v23
	v_fma_f16 v121, v2, 0x388b, -v122
	v_mul_f16_e32 v124, 0x33a8, v107
	v_add_f16_e32 v111, v57, v111
	v_fma_f16 v114, v99, 0x2fb7, -v114
	v_add_f16_e32 v117, v119, v117
	v_fmac_f16_e32 v122, 0x388b, v2
	v_fmac_f16_e32 v103, 0xb5ac, v3
	v_add_f16_e32 v92, v97, v92
	v_fma_f16 v97, v102, 0x3b15, -v101
	v_add_f16_e32 v22, v24, v22
	v_fmamk_f16 v24, v91, 0x3b15, v120
	v_mul_f16_e32 v123, 0xbb7b, v0
	v_add_f16_e32 v23, v121, v23
	v_fma_f16 v121, v9, 0xbbc4, -v124
	v_mul_f16_e32 v126, 0x3770, v110
	v_add_f16_e32 v111, v114, v111
	v_fma_f16 v114, v102, 0x388b, -v116
	v_add_f16_e32 v117, v122, v117
	v_fmac_f16_e32 v124, 0xbbc4, v9
	v_add_f16_e32 v103, v17, v103
	v_fmac_f16_e32 v67, 0xb9fd, v8
	v_add_f16_e32 v92, v97, v92
	v_fma_f16 v96, v100, 0x2fb7, -v96
	v_add_f16_e32 v22, v24, v22
	v_fmamk_f16 v24, v108, 0xb5ac, v123
	v_mul_f16_e32 v125, 0xb3a8, v11
	v_add_f16_e32 v23, v121, v23
	v_fma_f16 v121, v19, 0x3b15, -v126
	v_add_f16_e32 v111, v114, v111
	v_fma_f16 v114, v100, 0xbbc4, -v118
	v_add_f16_e32 v101, v124, v117
	v_fmac_f16_e32 v126, 0x3b15, v19
	v_add_f16_e32 v67, v67, v103
	v_fmac_f16_e32 v105, 0x3b15, v2
	v_add_f16_e32 v92, v96, v92
	v_fma_f16 v93, v91, 0xbbc4, -v93
	v_mul_f16_e32 v96, 0x2fb7, v78
	v_add_f16_e32 v22, v24, v22
	v_fmamk_f16 v24, v78, 0xbbc4, v125
	v_mul_f16_e32 v127, 0x3770, v4
	v_mul_f16_e64 v128, 0xbb7b, v113
	v_add_f16_e32 v111, v114, v111
	v_fma_f16 v114, v91, 0x3b15, -v120
	v_add_f16_e32 v97, v126, v101
	v_add_f16_e32 v67, v105, v67
	v_fmac_f16_e32 v109, 0x2fb7, v9
	v_add_f16_e32 v92, v93, v92
	v_fmamk_f16 v93, v11, 0x3bf1, v96
	v_mul_f16_e32 v101, 0xbbc4, v99
	v_fma_f16 v103, v108, 0x388b, -v106
	v_add_f16_e32 v24, v57, v24
	v_fma_f16 v129, 0x3b15, v99, v127
	v_mul_f16_e64 v130, 0xb94e, v5
	v_add_f16_e32 v23, v121, v23
	v_fma_f16 v121, v20, 0xb5ac, -v128
	v_mul_f16_e64 v131, 0xb3a8, v98
	v_fma_f16 v125, v78, 0xbbc4, -v125
	v_add_f16_e32 v111, v114, v111
	v_fma_f16 v114, v108, 0xb5ac, -v123
	v_add_f16_e32 v67, v109, v67
	v_fmac_f16_e32 v112, 0xbbc4, v19
	v_add_f16_e32 v93, v57, v93
	v_fmamk_f16 v105, v4, 0x33a8, v101
	v_mul_f16_e32 v106, 0xb5ac, v102
	v_add_f16_e32 v92, v103, v92
	v_mul_f16_e32 v103, 0xbbf1, v98
	v_add_f16_e64 v24, v129, v24
	v_fma_f16 v129, 0xb9fd, v102, v130
	v_mul_f16_e64 v132, 0x3a95, v6
	v_add_f16_e32 v23, v121, v23
	v_fma_f16 v121, v3, 0xbbc4, -v131
	v_mul_f16_e64 v133, 0x3770, v104
	v_add_f16_e32 v125, v57, v125
	v_fma_f16 v127, v99, 0x3b15, -v127
	v_add_f16_e32 v111, v114, v111
	v_add_f16_e32 v67, v112, v67
	;; [unrolled: 1-line block ×3, first 2 shown]
	v_fmamk_f16 v105, v5, 0xbb7b, v106
	v_mul_f16_e32 v109, 0x3b15, v100
	v_fmamk_f16 v112, v3, 0x2fb7, v103
	v_mul_f16_e32 v114, 0xb3a8, v104
	v_add_f16_e64 v24, v129, v24
	v_fma_f16 v129, 0x388b, v100, v132
	v_mul_f16_e64 v134, 0xbb7b, v7
	v_add_f16_e32 v121, v17, v121
	v_fma_f16 v135, v8, 0x3b15, -v133
	v_mul_f16_e64 v136, 0xb94e, v95
	v_add_f16_e32 v125, v127, v125
	v_fma_f16 v127, v102, 0xb9fd, -v130
	v_fmac_f16_e32 v115, 0x388b, v20
	v_add_f16_e32 v93, v105, v93
	v_fmamk_f16 v105, v6, 0xb770, v109
	v_mul_f16_e32 v117, 0x388b, v91
	v_add_f16_e32 v112, v17, v112
	v_fmamk_f16 v118, v8, 0xbbc4, v114
	v_mul_f16_e32 v119, 0x3b7b, v95
	v_add_f16_e64 v24, v129, v24
	v_fma_f16 v129, 0xb5ac, v91, v134
	v_mul_f16_e64 v137, 0x3bf1, v0
	v_add_f16_e64 v121, v135, v121
	v_fma_f16 v135, v2, 0xb9fd, -v136
	v_mul_f16_e64 v138, 0x3a95, v107
	v_add_f16_e32 v125, v127, v125
	v_fma_f16 v127, v100, 0x388b, -v132
	v_add_f16_e32 v93, v105, v93
	v_fmamk_f16 v105, v7, 0x3a95, v117
	v_add_f16_e32 v67, v115, v67
	v_add_f16_e32 v112, v118, v112
	v_fmamk_f16 v115, v2, 0xb5ac, v119
	v_mul_f16_e32 v118, 0x3770, v107
	v_add_f16_e64 v24, v129, v24
	v_fma_f16 v129, 0x2fb7, v108, v137
	v_add_f16_e64 v121, v135, v121
	v_fma_f16 v135, v9, 0x388b, -v138
	v_mul_f16_e64 v139, 0xbb7b, v110
	v_add_f16_e32 v125, v127, v125
	v_fma_f16 v127, v91, 0xb5ac, -v134
	v_add_f16_e32 v93, v105, v93
	v_mul_f16_e32 v105, 0x388b, v78
	v_add_f16_e32 v112, v115, v112
	v_fmamk_f16 v115, v9, 0x3b15, v118
	v_mul_f16_e32 v122, 0xba95, v110
	v_add_f16_e64 v24, v129, v24
	v_add_f16_e64 v121, v135, v121
	v_fma_f16 v129, v19, 0xb5ac, -v139
	v_mul_f16_e64 v135, 0x3bf1, v113
	v_fmac_f16_e64 v131, 0xbbc4, v3
	v_add_f16_e32 v125, v127, v125
	v_fma_f16 v127, v108, 0x2fb7, -v137
	v_fmac_f16_e64 v128, 0xb5ac, v20
	v_mul_f16_e32 v120, 0xb9fd, v108
	v_fmamk_f16 v123, v11, 0x3a95, v105
	v_mul_f16_e32 v124, 0xb5ac, v99
	v_add_f16_e32 v112, v115, v112
	v_fmamk_f16 v115, v19, 0x388b, v122
	v_add_f16_e64 v121, v129, v121
	v_fma_f16 v129, v20, 0x2fb7, -v135
	v_add_f16_e64 v130, v17, v131
	v_fmac_f16_e64 v133, 0x3b15, v8
	v_add_f16_e32 v125, v127, v125
	v_add_f16_e64 v97, v128, v97
	v_fmamk_f16 v126, v0, 0x394e, v120
	v_add_f16_e32 v123, v57, v123
	v_fmamk_f16 v127, v4, 0x3b7b, v124
	v_mul_f16_e64 v128, 0xbbc4, v102
	v_add_f16_e32 v112, v115, v112
	v_mul_f16_e32 v115, 0xba95, v98
	v_add_f16_e32 v60, v17, v60
	v_add_f16_e64 v121, v129, v121
	v_add_f16_e64 v129, v133, v130
	v_add_f16_e32 v93, v126, v93
	v_add_f16_e32 v123, v127, v123
	v_fma_f16 v126, 0x33a8, v5, v128
	v_mul_f16_e32 v127, 0xb9fd, v100
	v_fma_f16 v130, 0x388b, v3, v115
	v_mul_f16_e64 v131, 0xbb7b, v104
	v_add_f16_e32 v60, v62, v60
	v_add_f16_e32 v61, v61, v57
	v_fmac_f16_e64 v136, 0xb9fd, v2
	v_add_f16_e32 v123, v126, v123
	v_fmamk_f16 v126, v6, 0xb94e, v127
	v_mul_f16_e64 v132, 0x2fb7, v91
	v_add_f16_e64 v130, v17, v130
	v_fma_f16 v133, 0xb5ac, v8, v131
	v_mul_f16_e64 v134, 0xb3a8, v95
	v_add_f16_e32 v28, v28, v60
	v_add_f16_e32 v60, v64, v61
	v_add_f16_e64 v129, v136, v129
	v_fmac_f16_e64 v138, 0x388b, v9
	v_add_f16_e32 v123, v126, v123
	v_fma_f16 v126, 0xbbf1, v7, v132
	v_add_f16_e64 v130, v133, v130
	v_fma_f16 v133, 0xbbc4, v2, v134
	v_mul_f16_e64 v136, 0x394e, v107
	v_mul_f16_e32 v78, 0x3b15, v78
	v_add_f16_e32 v28, v74, v28
	v_add_f16_e32 v60, v73, v60
	v_add_f16_e64 v116, v138, v129
	v_fmac_f16_e64 v139, 0xb5ac, v19
	v_add_f16_e32 v123, v126, v123
	v_add_f16_e64 v126, v133, v130
	v_fma_f16 v130, 0xb9fd, v9, v136
	v_mul_f16_e64 v133, 0x3bf1, v110
	v_fma_f16 v137, 0x3770, v11, v78
	v_mul_f16_e32 v99, 0x388b, v99
	v_add_f16_e32 v28, v72, v28
	v_add_f16_e32 v60, v75, v60
	v_add_f16_e64 v116, v139, v116
	v_add_f16_e64 v126, v130, v126
	v_fma_f16 v130, 0x2fb7, v19, v133
	v_mul_f16_e64 v138, 0x3770, v113
	v_add_f16_e64 v137, v57, v137
	v_fma_f16 v139, 0x3a95, v4, v99
	v_mul_f16_e32 v102, 0x2fb7, v102
	v_add_f16_e32 v28, v77, v28
	v_add_f16_e32 v60, v70, v60
	v_add_f16_e64 v126, v130, v126
	v_fma_f16 v130, 0x3b15, v20, v138
	v_add_f16_e64 v137, v139, v137
	v_fma_f16 v139, 0x3bf1, v5, v102
	v_mul_f16_e32 v100, 0xb5ac, v100
	v_add_f16_e32 v28, v76, v28
	v_add_f16_e32 v60, v94, v60
	v_add_f16_e64 v126, v130, v126
	v_add_f16_e64 v130, v139, v137
	v_fmamk_f16 v62, v6, 0x3b7b, v100
	v_mul_f16_e32 v91, 0xb9fd, v91
	v_mul_f16_e32 v98, 0xb770, v98
	v_add_f16_e32 v28, v71, v28
	v_add_f16_e32 v60, v68, v60
	v_add_f16_e64 v61, v62, v130
	v_fmamk_f16 v62, v7, 0x394e, v91
	v_fmamk_f16 v64, v3, 0x3b15, v98
	v_mul_f16_e32 v73, 0xba95, v104
	v_add_f16_e32 v27, v27, v28
	v_add_f16_e32 v28, v69, v60
	v_fmac_f16_e32 v96, 0xbbf1, v11
	v_add_f16_e32 v61, v62, v61
	v_add_f16_e32 v62, v17, v64
	v_fmamk_f16 v64, v8, 0x388b, v73
	v_mul_f16_e32 v72, 0xbbf1, v95
	v_add_f16_e32 v25, v25, v27
	v_add_f16_e32 v27, v65, v28
	;; [unrolled: 1-line block ×3, first 2 shown]
	v_fmac_f16_e32 v101, 0xb3a8, v4
	v_add_f16_e32 v62, v64, v62
	v_fmamk_f16 v64, v2, 0x2fb7, v72
	v_mul_f16_e32 v70, 0xbb7b, v107
	v_add_f16_e32 v25, v59, v25
	v_add_f16_e32 v26, v26, v27
	;; [unrolled: 1-line block ×3, first 2 shown]
	v_fmac_f16_e32 v106, 0x3b7b, v5
	v_fma_f16 v59, v3, 0x2fb7, -v103
	v_add_f16_e32 v62, v64, v62
	v_fmamk_f16 v64, v9, 0xb5ac, v70
	v_mul_f16_e32 v68, 0xb94e, v110
	v_add_f16_e32 v25, v58, v25
	v_add_f16_e32 v10, v10, v26
	;; [unrolled: 1-line block ×3, first 2 shown]
	v_fmac_f16_e32 v109, 0x3770, v6
	v_add_f16_e32 v27, v17, v59
	v_fma_f16 v58, v8, 0xbbc4, -v114
	v_add_f16_e32 v62, v64, v62
	v_fmamk_f16 v60, v19, 0xb9fd, v68
	v_mul_f16_e32 v64, 0xb3a8, v113
	v_add_f16_e32 v10, v18, v10
	v_add_f16_e32 v18, v109, v26
	;; [unrolled: 1-line block ×3, first 2 shown]
	v_fma_f16 v27, v2, 0xb5ac, -v119
	v_add_f16_e32 v60, v60, v62
	v_fmamk_f16 v62, v20, 0xbbc4, v64
	v_fma_f16 v59, v3, 0x388b, -v115
	v_mul_f16_e64 v129, 0xb94e, v113
	v_add_f16_e32 v26, v27, v26
	v_fma_f16 v27, v9, 0x3b15, -v118
	v_add_f16_e32 v28, v62, v60
	v_fmac_f16_e32 v105, 0xba95, v11
	v_add_f16_e32 v59, v17, v59
	v_fma_f16 v60, v8, 0xb5ac, -v131
	v_add_f16_e32 v26, v27, v26
	v_fma_f16 v27, v19, 0x388b, -v122
	v_fmac_f16_e32 v78, 0xb770, v11
	v_fma_f16 v3, v3, 0x3b15, -v98
	v_add_f16_e32 v58, v57, v105
	v_add_f16_e32 v59, v60, v59
	;; [unrolled: 1-line block ×3, first 2 shown]
	v_fma_f16 v27, v20, 0xb9fd, -v129
	v_fma_f16 v60, v2, 0xbbc4, -v134
	v_add_f16_e32 v57, v57, v78
	v_fmac_f16_e32 v99, 0xba95, v4
	v_fmac_f16_e64 v135, 0x2fb7, v20
	v_fmac_f16_e32 v124, 0xbb7b, v4
	v_add_f16_e32 v3, v17, v3
	v_fma_f16 v8, v8, 0x388b, -v73
	v_add_f16_e32 v11, v27, v26
	v_add_f16_e32 v27, v60, v59
	v_fma_f16 v4, v9, 0xb9fd, -v136
	v_add_f16_e32 v17, v99, v57
	v_fmac_f16_e32 v102, 0xbbf1, v5
	v_add_f16_e64 v116, v135, v116
	v_fma_f16 v135, 0xb9fd, v20, v129
	v_add_f16_e32 v58, v124, v58
	v_fmac_f16_e64 v128, 0xb3a8, v5
	v_add_f16_e32 v3, v8, v3
	v_fma_f16 v2, v2, 0x2fb7, -v72
	v_mul_f16_e32 v74, 0xbbc4, v108
	v_add_f16_e32 v4, v4, v27
	v_fma_f16 v5, v19, 0x2fb7, -v133
	v_add_f16_e32 v8, v102, v17
	v_fmac_f16_e32 v100, 0xbb7b, v6
	v_add_f16_e64 v112, v135, v112
	v_mul_f16_e64 v135, 0x3b15, v108
	v_add_f16_e64 v58, v128, v58
	v_fmac_f16_e32 v127, 0x394e, v6
	v_add_f16_e32 v2, v2, v3
	v_fma_f16 v3, v9, 0xb5ac, -v70
	v_fmamk_f16 v75, v0, 0x33a8, v74
	v_add_f16_e32 v4, v5, v4
	v_add_f16_e32 v5, v100, v8
	v_mul_u32_u24_e32 v8, 0x4e, v54
	v_fma_f16 v140, 0xb770, v0, v135
	v_fmac_f16_e32 v117, 0xba95, v7
	v_add_f16_e32 v58, v127, v58
	v_fmac_f16_e64 v132, 0x3bf1, v7
	v_fmac_f16_e32 v91, 0xb94e, v7
	v_add_f16_e32 v2, v3, v2
	v_fma_f16 v3, v19, 0xb9fd, -v68
	v_add_f16_e32 v61, v75, v61
	v_add_nc_u32_e32 v8, v8, v52
	v_add_f16_e64 v123, v140, v123
	v_add_f16_e32 v18, v117, v18
	v_fmac_f16_e32 v120, 0xb94e, v0
	v_add_f16_e64 v26, v132, v58
	v_fmac_f16_e64 v135, 0x3770, v0
	v_fma_f16 v7, v20, 0x3b15, -v138
	v_add_f16_e32 v5, v91, v5
	v_fmac_f16_e32 v74, 0xb3a8, v0
	v_add_f16_e32 v0, v3, v2
	v_fma_f16 v2, v20, 0xbbc4, -v64
	v_lshl_add_u32 v3, v8, 2, v51
	v_pack_b32_f16 v8, v25, v10
	v_pack_b32_f16 v9, v28, v61
	;; [unrolled: 1-line block ×4, first 2 shown]
	v_add_f16_e32 v18, v120, v18
	v_add_f16_e64 v6, v135, v26
	v_add_f16_e32 v4, v7, v4
	v_add_f16_e32 v5, v74, v5
	;; [unrolled: 1-line block ×3, first 2 shown]
	v_pack_b32_f16 v2, v67, v92
	v_pack_b32_f16 v7, v97, v111
	ds_store_2addr_b32 v3, v8, v9 offset1:6
	ds_store_2addr_b32 v3, v10, v17 offset0:12 offset1:18
	v_pack_b32_f16 v8, v116, v125
	v_pack_b32_f16 v9, v121, v24
	;; [unrolled: 1-line block ×7, first 2 shown]
	ds_store_2addr_b32 v3, v2, v7 offset0:24 offset1:30
	ds_store_2addr_b32 v3, v8, v9 offset0:36 offset1:42
	;; [unrolled: 1-line block ×4, first 2 shown]
	ds_store_b32 v3, v0 offset:288
.LBB0_17:
	s_wait_alu 0xfffe
	s_or_b32 exec_lo, exec_lo, s1
	global_wb scope:SCOPE_SE
	s_wait_dscnt 0x0
	s_barrier_signal -1
	s_barrier_wait -1
	global_inv scope:SCOPE_SE
	ds_load_2addr_b32 v[4:5], v43 offset1:78
	ds_load_2addr_b32 v[6:7], v43 offset0:156 offset1:234
	v_add_nc_u32_e32 v0, 0x400, v43
	v_add_nc_u32_e32 v3, 0x600, v43
	;; [unrolled: 1-line block ×3, first 2 shown]
	ds_load_2addr_b32 v[8:9], v0 offset0:56 offset1:134
	ds_load_2addr_b32 v[10:11], v3 offset0:84 offset1:162
	;; [unrolled: 1-line block ×3, first 2 shown]
	global_wb scope:SCOPE_SE
	s_wait_dscnt 0x0
	s_barrier_signal -1
	s_barrier_wait -1
	global_inv scope:SCOPE_SE
	s_mov_b32 s8, 0x15015015
	s_mov_b32 s9, 0x3f550150
	v_lshrrev_b32_e32 v1, 16, v4
	v_lshrrev_b32_e32 v19, 16, v6
	;; [unrolled: 1-line block ×3, first 2 shown]
	v_mul_f16_e32 v22, v90, v6
	v_lshrrev_b32_e32 v20, 16, v5
	v_lshrrev_b32_e32 v23, 16, v8
	;; [unrolled: 1-line block ×4, first 2 shown]
	v_mul_f16_e32 v28, v90, v19
	v_lshrrev_b32_e32 v26, 16, v9
	v_fma_f16 v19, v12, v19, -v22
	v_mul_f16_e32 v54, v88, v24
	v_mul_f16_e32 v57, v84, v25
	v_fmac_f16_e32 v28, v12, v6
	v_mul_f16_e32 v6, v89, v23
	v_mul_f16_e32 v22, v89, v8
	;; [unrolled: 1-line block ×3, first 2 shown]
	v_fmac_f16_e32 v54, v14, v10
	v_fmac_f16_e32 v57, v15, v17
	;; [unrolled: 1-line block ×3, first 2 shown]
	v_mul_f16_e32 v8, v84, v17
	v_mul_f16_e32 v10, v90, v21
	;; [unrolled: 1-line block ×3, first 2 shown]
	v_lshrrev_b32_e32 v27, 16, v11
	v_lshrrev_b32_e32 v51, 16, v18
	v_fma_f16 v22, v13, v23, -v22
	v_fma_f16 v23, v14, v24, -v52
	v_mul_f16_e32 v24, v89, v26
	v_mul_f16_e32 v52, v89, v9
	v_fma_f16 v8, v15, v25, -v8
	v_fmac_f16_e32 v10, v12, v7
	v_fma_f16 v7, v12, v21, -v17
	v_add_f16_e32 v12, v6, v54
	v_fmac_f16_e32 v24, v13, v9
	v_fma_f16 v9, v13, v26, -v52
	v_mul_f16_e32 v13, v88, v27
	v_mul_f16_e32 v17, v88, v11
	;; [unrolled: 1-line block ×3, first 2 shown]
	v_add_f16_e32 v25, v4, v28
	v_fma_f16 v12, -0.5, v12, v4
	v_sub_f16_e32 v26, v19, v8
	v_add_f16_e32 v58, v28, v57
	v_fmac_f16_e32 v13, v14, v11
	v_fma_f16 v11, v14, v27, -v17
	v_fmac_f16_e32 v21, v15, v18
	v_add_f16_e32 v14, v25, v6
	v_fmamk_f16 v17, v26, 0xbb9c, v12
	v_sub_f16_e32 v25, v22, v23
	v_sub_f16_e32 v27, v28, v6
	;; [unrolled: 1-line block ×3, first 2 shown]
	v_mul_f16_e32 v18, v84, v18
	v_fma_f16 v4, -0.5, v58, v4
	v_fmac_f16_e32 v12, 0x3b9c, v26
	v_add_f16_e32 v58, v1, v19
	v_fmac_f16_e32 v17, 0xb8b4, v25
	v_add_f16_e32 v27, v27, v52
	v_fma_f16 v15, v15, v51, -v18
	v_fmamk_f16 v18, v25, 0x3b9c, v4
	v_sub_f16_e32 v51, v6, v28
	v_sub_f16_e32 v52, v54, v57
	v_fmac_f16_e32 v12, 0x38b4, v25
	v_add_f16_e32 v59, v22, v23
	v_fmac_f16_e32 v4, 0xbb9c, v25
	v_add_f16_e32 v25, v58, v22
	v_add_f16_e32 v14, v14, v54
	v_fmac_f16_e32 v17, 0x34f2, v27
	v_add_f16_e32 v51, v51, v52
	v_fma_f16 v52, -0.5, v59, v1
	v_sub_f16_e32 v28, v28, v57
	v_fmac_f16_e32 v12, 0x34f2, v27
	v_add_f16_e32 v25, v25, v23
	v_add_f16_e32 v27, v19, v8
	v_add_f16_e32 v14, v14, v57
	v_fmac_f16_e32 v18, 0xb8b4, v26
	v_fmac_f16_e32 v4, 0x38b4, v26
	v_fmamk_f16 v26, v28, 0x3b9c, v52
	v_sub_f16_e32 v6, v6, v54
	v_sub_f16_e32 v54, v19, v22
	;; [unrolled: 1-line block ×3, first 2 shown]
	v_fmac_f16_e32 v1, -0.5, v27
	v_add_f16_e32 v25, v25, v8
	v_fmac_f16_e32 v52, 0xbb9c, v28
	v_sub_f16_e32 v19, v22, v19
	v_sub_f16_e32 v8, v23, v8
	v_add_f16_e32 v22, v24, v13
	v_fmac_f16_e32 v18, 0x34f2, v51
	v_fmac_f16_e32 v4, 0x34f2, v51
	;; [unrolled: 1-line block ×3, first 2 shown]
	v_add_f16_e32 v27, v54, v57
	v_fmamk_f16 v51, v6, 0xbb9c, v1
	v_fmac_f16_e32 v52, 0xb8b4, v6
	v_add_f16_e32 v8, v19, v8
	v_fmac_f16_e32 v1, 0x3b9c, v6
	v_add_f16_e32 v6, v5, v10
	v_fma_f16 v19, -0.5, v22, v5
	v_sub_f16_e32 v22, v7, v15
	v_fmac_f16_e32 v26, 0x34f2, v27
	v_fmac_f16_e32 v51, 0x38b4, v28
	;; [unrolled: 1-line block ×4, first 2 shown]
	v_add_f16_e32 v6, v6, v24
	v_fmamk_f16 v23, v22, 0xbb9c, v19
	v_sub_f16_e32 v27, v9, v11
	v_sub_f16_e32 v28, v10, v24
	;; [unrolled: 1-line block ×3, first 2 shown]
	v_fmac_f16_e32 v19, 0x3b9c, v22
	v_add_f16_e32 v57, v10, v21
	v_add_f16_e32 v6, v6, v13
	v_fmac_f16_e32 v23, 0xb8b4, v27
	v_add_f16_e32 v28, v28, v54
	v_fmac_f16_e32 v19, 0x38b4, v27
	v_fmac_f16_e32 v5, -0.5, v57
	v_sub_f16_e32 v54, v24, v10
	v_sub_f16_e32 v57, v13, v21
	v_fmac_f16_e32 v51, 0x34f2, v8
	v_fmac_f16_e32 v1, 0x34f2, v8
	v_add_f16_e32 v6, v6, v21
	v_fmac_f16_e32 v23, 0x34f2, v28
	v_fmac_f16_e32 v19, 0x34f2, v28
	v_fmamk_f16 v8, v27, 0x3b9c, v5
	v_add_f16_e32 v28, v9, v11
	v_fmac_f16_e32 v5, 0xbb9c, v27
	v_add_f16_e32 v27, v20, v7
	v_sub_f16_e32 v10, v10, v21
	v_add_f16_e32 v21, v54, v57
	v_add_f16_e32 v54, v7, v15
	v_fma_f16 v28, -0.5, v28, v20
	v_fmac_f16_e32 v8, 0xb8b4, v22
	v_fmac_f16_e32 v5, 0x38b4, v22
	v_add_f16_e32 v22, v27, v9
	v_sub_f16_e32 v13, v24, v13
	v_fmac_f16_e32 v20, -0.5, v54
	v_fmamk_f16 v27, v10, 0x3b9c, v28
	v_fmac_f16_e32 v8, 0x34f2, v21
	v_fmac_f16_e32 v5, 0x34f2, v21
	v_add_f16_e32 v21, v22, v11
	v_sub_f16_e32 v22, v7, v9
	v_sub_f16_e32 v24, v15, v11
	v_fmamk_f16 v54, v13, 0xbb9c, v20
	v_sub_f16_e32 v7, v9, v7
	v_sub_f16_e32 v9, v11, v15
	v_fmac_f16_e32 v28, 0xbb9c, v10
	v_fmac_f16_e32 v20, 0x3b9c, v13
	;; [unrolled: 1-line block ×3, first 2 shown]
	v_add_f16_e32 v11, v22, v24
	v_fmac_f16_e32 v54, 0x38b4, v10
	v_add_f16_e32 v7, v7, v9
	v_fmac_f16_e32 v28, 0xb8b4, v13
	v_fmac_f16_e32 v20, 0xb8b4, v10
	v_add_f16_e32 v9, v21, v15
	v_fmac_f16_e32 v27, 0x34f2, v11
	v_fmac_f16_e32 v54, 0x34f2, v7
	v_fmac_f16_e32 v28, 0x34f2, v11
	v_fmac_f16_e32 v20, 0x34f2, v7
	v_pack_b32_f16 v7, v14, v25
	v_pack_b32_f16 v10, v17, v26
	;; [unrolled: 1-line block ×10, first 2 shown]
	ds_store_2addr_b32 v43, v7, v10 offset1:78
	ds_store_2addr_b32 v43, v11, v1 offset0:156 offset1:234
	ds_store_2addr_b32 v0, v4, v6 offset0:56 offset1:134
	;; [unrolled: 1-line block ×4, first 2 shown]
	global_wb scope:SCOPE_SE
	s_wait_dscnt 0x0
	s_barrier_signal -1
	s_barrier_wait -1
	global_inv scope:SCOPE_SE
	ds_load_2addr_b32 v[4:5], v43 offset1:78
	ds_load_2addr_b32 v[6:7], v0 offset0:56 offset1:134
	ds_load_2addr_b32 v[8:9], v3 offset0:84 offset1:162
	;; [unrolled: 1-line block ×4, first 2 shown]
	s_wait_dscnt 0x4
	v_lshrrev_b32_e32 v1, 16, v4
	s_wait_dscnt 0x3
	v_lshrrev_b32_e32 v14, 16, v7
	;; [unrolled: 2-line block ×3, first 2 shown]
	v_lshrrev_b32_e32 v19, 16, v9
	s_wait_dscnt 0x0
	v_lshrrev_b32_e32 v21, 16, v12
	v_mul_f16_e32 v24, v87, v7
	v_mul_f16_e32 v23, v87, v14
	v_lshrrev_b32_e32 v25, 16, v13
	v_mul_f16_e32 v26, v86, v17
	v_mul_f16_e32 v27, v86, v8
	v_lshrrev_b32_e32 v15, 16, v5
	v_fmac_f16_e32 v23, v80, v7
	v_fma_f16 v7, v80, v14, -v24
	v_mul_f16_e32 v14, v85, v19
	v_mul_f16_e32 v24, v66, v21
	v_fmac_f16_e32 v26, v83, v8
	v_fma_f16 v8, v83, v17, -v27
	v_mul_f16_e32 v17, v85, v9
	v_fmac_f16_e32 v14, v79, v9
	v_mul_f16_e32 v9, v66, v12
	v_mul_f16_e32 v27, v63, v25
	v_fmac_f16_e32 v24, v81, v12
	v_mul_f16_e32 v12, v63, v13
	v_lshrrev_b32_e32 v18, 16, v10
	v_lshrrev_b32_e32 v20, 16, v11
	;; [unrolled: 1-line block ×3, first 2 shown]
	v_fma_f16 v17, v79, v19, -v17
	v_fma_f16 v9, v81, v21, -v9
	v_fmac_f16_e32 v27, v82, v13
	v_sub_f16_e32 v13, v4, v23
	v_sub_f16_e32 v7, v1, v7
	v_fma_f16 v12, v82, v25, -v12
	v_sub_f16_e32 v19, v5, v26
	v_sub_f16_e32 v8, v15, v8
	v_fma_f16 v4, v4, 2.0, -v13
	v_fma_f16 v1, v1, 2.0, -v7
	v_sub_f16_e32 v14, v10, v14
	v_fma_f16 v5, v5, 2.0, -v19
	v_fma_f16 v15, v15, 2.0, -v8
	v_sub_f16_e32 v17, v18, v17
	v_sub_f16_e32 v21, v11, v24
	;; [unrolled: 1-line block ×5, first 2 shown]
	v_fma_f16 v10, v10, 2.0, -v14
	v_fma_f16 v18, v18, 2.0, -v17
	;; [unrolled: 1-line block ×5, first 2 shown]
	v_pack_b32_f16 v1, v4, v1
	v_pack_b32_f16 v4, v5, v15
	v_fma_f16 v5, v22, 2.0, -v12
	v_pack_b32_f16 v7, v13, v7
	v_pack_b32_f16 v10, v10, v18
	v_pack_b32_f16 v11, v11, v20
	ds_store_2addr_b32 v43, v1, v4 offset1:78
	v_pack_b32_f16 v4, v6, v5
	v_pack_b32_f16 v1, v19, v8
	;; [unrolled: 1-line block ×5, first 2 shown]
	ds_store_2addr_b32 v43, v10, v11 offset0:156 offset1:234
	ds_store_2addr_b32 v0, v4, v7 offset0:56 offset1:134
	ds_store_b32 v43, v1 offset:1872
	ds_store_b32 v53, v5 offset:1560
	;; [unrolled: 1-line block ×4, first 2 shown]
	global_wb scope:SCOPE_SE
	s_wait_dscnt 0x0
	s_barrier_signal -1
	s_barrier_wait -1
	global_inv scope:SCOPE_SE
	ds_load_2addr_b32 v[4:5], v43 offset1:78
	s_wait_dscnt 0x0
	v_lshrrev_b32_e32 v1, 16, v4
	s_delay_alu instid0(VALU_DEP_1) | instskip(NEXT) | instid1(VALU_DEP_1)
	v_mul_f16_e32 v6, v50, v1
	v_fmac_f16_e32 v6, v48, v4
	v_mul_f16_e32 v4, v50, v4
	s_delay_alu instid0(VALU_DEP_2) | instskip(NEXT) | instid1(VALU_DEP_2)
	v_cvt_f32_f16_e32 v6, v6
	v_fma_f16 v1, v48, v1, -v4
	s_delay_alu instid0(VALU_DEP_2) | instskip(NEXT) | instid1(VALU_DEP_2)
	v_cvt_f64_f32_e32 v[6:7], v6
	v_cvt_f32_f16_e32 v1, v1
	s_delay_alu instid0(VALU_DEP_1) | instskip(SKIP_3) | instid1(VALU_DEP_1)
	v_cvt_f64_f32_e32 v[8:9], v1
	ds_load_2addr_b32 v[0:1], v0 offset0:56 offset1:134
	s_wait_dscnt 0x0
	v_lshrrev_b32_e32 v4, 16, v1
	v_mul_f16_e32 v10, v49, v4
	s_delay_alu instid0(VALU_DEP_1) | instskip(SKIP_3) | instid1(VALU_DEP_3)
	v_fmac_f16_e32 v10, v47, v1
	s_wait_alu 0xfffe
	v_mul_f64_e32 v[6:7], s[8:9], v[6:7]
	v_mul_f16_e32 v1, v49, v1
	v_cvt_f32_f16_e32 v10, v10
	v_mul_f64_e32 v[8:9], s[8:9], v[8:9]
	s_delay_alu instid0(VALU_DEP_3) | instskip(NEXT) | instid1(VALU_DEP_3)
	v_fma_f16 v1, v47, v4, -v1
	v_cvt_f64_f32_e32 v[10:11], v10
	s_delay_alu instid0(VALU_DEP_2) | instskip(SKIP_3) | instid1(VALU_DEP_3)
	v_cvt_f32_f16_e32 v1, v1
	v_and_or_b32 v6, 0x1ff, v7, v6
	v_lshrrev_b32_e32 v12, 8, v7
	v_bfe_u32 v14, v7, 20, 11
	v_cmp_ne_u32_e32 vcc_lo, 0, v6
	v_and_or_b32 v8, 0x1ff, v9, v8
	v_lshrrev_b32_e32 v13, 8, v9
	v_bfe_u32 v17, v9, 20, 11
	v_mul_f64_e32 v[10:11], s[8:9], v[10:11]
	s_wait_alu 0xfffd
	v_cndmask_b32_e64 v6, 0, 1, vcc_lo
	v_cmp_ne_u32_e32 vcc_lo, 0, v8
	v_lshrrev_b32_e32 v9, 16, v9
	v_add_nc_u32_e32 v22, 0xfffffc10, v17
	s_delay_alu instid0(VALU_DEP_4)
	v_and_or_b32 v6, 0xffe, v12, v6
	v_sub_nc_u32_e32 v12, 0x3f1, v14
	s_wait_alu 0xfffd
	v_cndmask_b32_e64 v8, 0, 1, vcc_lo
	v_cmp_gt_i32_e64 s1, 1, v22
	v_or_b32_e32 v15, 0x1000, v6
	v_med3_i32 v12, v12, 0, 13
	s_delay_alu instid0(VALU_DEP_4) | instskip(NEXT) | instid1(VALU_DEP_2)
	v_and_or_b32 v8, 0xffe, v13, v8
	v_lshrrev_b32_e32 v4, v12, v15
	s_delay_alu instid0(VALU_DEP_2) | instskip(NEXT) | instid1(VALU_DEP_2)
	v_or_b32_e32 v19, 0x1000, v8
	v_lshlrev_b32_e32 v18, v12, v4
	v_cvt_f64_f32_e32 v[12:13], v1
	v_sub_nc_u32_e32 v1, 0x3f1, v17
	s_delay_alu instid0(VALU_DEP_3) | instskip(SKIP_1) | instid1(VALU_DEP_3)
	v_cmp_ne_u32_e32 vcc_lo, v18, v15
	v_add_nc_u32_e32 v18, 0xfffffc10, v14
	v_med3_i32 v1, v1, 0, 13
	s_wait_alu 0xfffd
	v_cndmask_b32_e64 v15, 0, 1, vcc_lo
	s_delay_alu instid0(VALU_DEP_3) | instskip(NEXT) | instid1(VALU_DEP_3)
	v_lshl_or_b32 v20, v18, 12, v6
	v_lshrrev_b32_e32 v21, v1, v19
	v_cmp_gt_i32_e32 vcc_lo, 1, v18
	s_delay_alu instid0(VALU_DEP_4) | instskip(SKIP_1) | instid1(VALU_DEP_4)
	v_or_b32_e32 v4, v4, v15
	v_mad_co_u64_u32 v[14:15], null, s6, v16, 0
	v_lshlrev_b32_e32 v1, v1, v21
	v_bfe_u32 v23, v11, 20, 11
	s_wait_alu 0xfffd
	v_cndmask_b32_e32 v4, v20, v4, vcc_lo
	s_delay_alu instid0(VALU_DEP_3) | instskip(NEXT) | instid1(VALU_DEP_2)
	v_cmp_ne_u32_e32 vcc_lo, v1, v19
	v_dual_mov_b32 v1, v15 :: v_dual_and_b32 v20, 7, v4
	s_wait_alu 0xfffd
	v_cndmask_b32_e64 v19, 0, 1, vcc_lo
	s_delay_alu instid0(VALU_DEP_2) | instskip(NEXT) | instid1(VALU_DEP_3)
	v_mad_co_u64_u32 v[15:16], null, s7, v16, v[1:2]
	v_cmp_lt_i32_e32 vcc_lo, 5, v20
	v_cmp_eq_u32_e64 s0, 3, v20
	v_lshrrev_b32_e32 v1, 2, v4
	v_or_b32_e32 v17, v21, v19
	v_lshl_or_b32 v19, v22, 12, v8
	v_lshrrev_b32_e32 v20, 16, v5
	s_or_b32 vcc_lo, s0, vcc_lo
	v_lshlrev_b64_e32 v[14:15], 2, v[14:15]
	v_mul_f64_e32 v[12:13], s[8:9], v[12:13]
	s_wait_alu 0xfffe
	v_add_co_ci_u32_e32 v1, vcc_lo, 0, v1, vcc_lo
	v_cmp_ne_u32_e32 vcc_lo, 0, v6
	v_cndmask_b32_e64 v4, v19, v17, s1
	v_cmp_eq_u32_e64 s1, 0x40f, v18
	s_wait_alu 0xfffd
	v_cndmask_b32_e64 v6, 0, 1, vcc_lo
	v_cmp_gt_i32_e32 vcc_lo, 31, v18
	v_and_b32_e32 v16, 7, v4
	v_mad_co_u64_u32 v[18:19], null, s4, v42, 0
	s_delay_alu instid0(VALU_DEP_4)
	v_lshl_or_b32 v6, v6, 9, 0x7c00
	s_wait_alu 0xfffd
	v_cndmask_b32_e32 v1, 0x7c00, v1, vcc_lo
	v_cmp_lt_i32_e32 vcc_lo, 5, v16
	v_cmp_eq_u32_e64 s0, 3, v16
	s_wait_alu 0xf1ff
	s_delay_alu instid0(VALU_DEP_3)
	v_cndmask_b32_e64 v21, v1, v6, s1
	v_lshrrev_b32_e32 v1, 2, v4
	v_and_or_b32 v6, 0x1ff, v11, v10
	v_mul_f16_e32 v4, v46, v20
	s_or_b32 vcc_lo, s0, vcc_lo
	v_lshrrev_b32_e32 v10, 8, v11
	s_wait_alu 0xfffe
	v_add_co_ci_u32_e32 v1, vcc_lo, 0, v1, vcc_lo
	v_cmp_ne_u32_e32 vcc_lo, 0, v6
	v_fmac_f16_e32 v4, v45, v5
	v_mul_f16_e32 v5, v46, v5
	v_lshrrev_b32_e32 v11, 16, v11
	s_wait_alu 0xfffd
	v_cndmask_b32_e64 v6, 0, 1, vcc_lo
	v_cmp_ne_u32_e32 vcc_lo, 0, v8
	v_cvt_f32_f16_e32 v4, v4
	v_fma_f16 v5, v45, v20, -v5
	v_add_nc_u32_e32 v20, 0xfffffc10, v23
	v_and_or_b32 v24, 0xffe, v10, v6
	s_wait_alu 0xfffd
	v_cndmask_b32_e64 v8, 0, 1, vcc_lo
	v_sub_nc_u32_e32 v6, 0x3f1, v23
	v_cmp_gt_i32_e32 vcc_lo, 31, v22
	v_cvt_f64_f32_e32 v[16:17], v4
	v_or_b32_e32 v4, 0x1000, v24
	v_lshl_or_b32 v8, v8, 9, 0x7c00
	v_med3_i32 v6, v6, 0, 13
	s_wait_alu 0xfffd
	v_cndmask_b32_e32 v1, 0x7c00, v1, vcc_lo
	v_and_or_b32 v12, 0x1ff, v13, v12
	v_cmp_eq_u32_e32 vcc_lo, 0x40f, v22
	v_lshrrev_b32_e32 v10, 16, v7
	v_lshrrev_b32_e32 v7, v6, v4
	v_bfe_u32 v25, v13, 20, 11
	v_cvt_f32_f16_e32 v5, v5
	s_wait_alu 0xfffd
	v_cndmask_b32_e32 v22, v1, v8, vcc_lo
	v_cmp_ne_u32_e32 vcc_lo, 0, v12
	v_lshlrev_b32_e32 v6, v6, v7
	v_lshrrev_b32_e32 v12, 8, v13
	v_mov_b32_e32 v1, v19
	v_lshl_or_b32 v19, v20, 12, v24
	s_wait_alu 0xfffd
	v_cndmask_b32_e64 v8, 0, 1, vcc_lo
	v_cmp_ne_u32_e32 vcc_lo, v6, v4
	v_sub_nc_u32_e32 v6, 0x3f1, v25
	v_and_or_b32 v10, 0x8000, v10, v21
	v_lshrrev_b32_e32 v13, 16, v13
	v_and_or_b32 v12, 0xffe, v12, v8
	s_wait_alu 0xfffd
	v_cndmask_b32_e64 v4, 0, 1, vcc_lo
	v_med3_i32 v26, v6, 0, 13
	v_cmp_gt_i32_e32 vcc_lo, 1, v20
	v_or_b32_e32 v23, 0x1000, v12
	s_delay_alu instid0(VALU_DEP_4) | instskip(SKIP_2) | instid1(VALU_DEP_4)
	v_or_b32_e32 v8, v7, v4
	v_cvt_f64_f32_e32 v[4:5], v5
	v_mad_co_u64_u32 v[6:7], null, s5, v42, v[1:2]
	v_lshrrev_b32_e32 v27, v26, v23
	s_wait_alu 0xfffd
	v_cndmask_b32_e32 v1, v19, v8, vcc_lo
	s_delay_alu instid0(VALU_DEP_2) | instskip(SKIP_1) | instid1(VALU_DEP_3)
	v_lshlrev_b32_e32 v21, v26, v27
	v_mul_f64_e32 v[7:8], s[8:9], v[16:17]
	v_and_b32_e32 v16, 7, v1
	v_and_or_b32 v17, 0x8000, v9, v22
	v_mov_b32_e32 v19, v6
	v_cmp_ne_u32_e64 s0, v21, v23
	v_and_b32_e32 v6, 0xffff, v10
	v_cmp_lt_i32_e32 vcc_lo, 5, v16
	ds_load_2addr_b32 v[9:10], v3 offset0:84 offset1:162
	v_lshrrev_b32_e32 v1, 2, v1
	s_wait_alu 0xf1ff
	v_cndmask_b32_e64 v3, 0, 1, s0
	v_cmp_eq_u32_e64 s0, 3, v16
	v_add_nc_u32_e32 v21, 0xfffffc10, v25
	v_lshl_or_b32 v22, v17, 16, v6
	s_delay_alu instid0(VALU_DEP_4) | instskip(NEXT) | instid1(VALU_DEP_4)
	v_or_b32_e32 v3, v27, v3
	s_or_b32 vcc_lo, s0, vcc_lo
	s_delay_alu instid0(VALU_DEP_3)
	v_lshl_or_b32 v6, v21, 12, v12
	s_wait_alu 0xfffe
	v_add_co_ci_u32_e32 v1, vcc_lo, 0, v1, vcc_lo
	v_cmp_ne_u32_e32 vcc_lo, 0, v24
	s_wait_alu 0xfffd
	v_cndmask_b32_e64 v16, 0, 1, vcc_lo
	v_cmp_gt_i32_e32 vcc_lo, 1, v21
	s_wait_dscnt 0x0
	v_lshrrev_b32_e32 v17, 16, v9
	s_wait_alu 0xfffd
	v_cndmask_b32_e32 v6, v6, v3, vcc_lo
	v_cmp_gt_i32_e32 vcc_lo, 31, v20
	v_lshl_or_b32 v3, v16, 9, 0x7c00
	s_wait_alu 0xfffd
	s_delay_alu instid0(VALU_DEP_3) | instskip(SKIP_3) | instid1(VALU_DEP_4)
	v_dual_cndmask_b32 v1, 0x7c00, v1 :: v_dual_and_b32 v16, 7, v6
	v_cmp_eq_u32_e32 vcc_lo, 0x40f, v20
	v_lshrrev_b32_e32 v6, 2, v6
	v_and_or_b32 v7, 0x1ff, v8, v7
	v_cmp_eq_u32_e64 s0, 3, v16
	v_lshrrev_b32_e32 v20, 8, v8
	s_wait_alu 0xfffd
	v_cndmask_b32_e32 v1, v1, v3, vcc_lo
	v_mul_f64_e32 v[3:4], s[8:9], v[4:5]
	v_mul_f16_e32 v5, v44, v17
	v_cmp_lt_i32_e32 vcc_lo, 5, v16
	v_bfe_u32 v23, v8, 20, 11
	v_and_or_b32 v1, 0x8000, v11, v1
	s_delay_alu instid0(VALU_DEP_4) | instskip(SKIP_1) | instid1(VALU_DEP_3)
	v_fmac_f16_e32 v5, v40, v9
	s_or_b32 vcc_lo, s0, vcc_lo
	v_sub_nc_u32_e32 v11, 0x3f1, v23
	s_wait_alu 0xfffe
	v_add_co_ci_u32_e32 v16, vcc_lo, 0, v6, vcc_lo
	v_cvt_f32_f16_e32 v5, v5
	v_cmp_ne_u32_e32 vcc_lo, 0, v12
	v_and_b32_e32 v1, 0xffff, v1
	v_mul_f16_e32 v9, v44, v9
	s_delay_alu instid0(VALU_DEP_4) | instskip(SKIP_4) | instid1(VALU_DEP_3)
	v_cvt_f64_f32_e32 v[5:6], v5
	s_wait_alu 0xfffd
	v_cndmask_b32_e64 v12, 0, 1, vcc_lo
	v_cmp_ne_u32_e32 vcc_lo, 0, v7
	v_fma_f16 v9, v40, v17, -v9
	v_lshl_or_b32 v12, v12, 9, 0x7c00
	s_wait_alu 0xfffd
	v_cndmask_b32_e64 v7, 0, 1, vcc_lo
	v_cmp_gt_i32_e32 vcc_lo, 31, v21
	v_cvt_f32_f16_e32 v9, v9
	s_delay_alu instid0(VALU_DEP_3)
	v_and_or_b32 v7, 0xffe, v20, v7
	s_wait_alu 0xfffd
	v_cndmask_b32_e32 v16, 0x7c00, v16, vcc_lo
	v_cmp_eq_u32_e32 vcc_lo, 0x40f, v21
	v_med3_i32 v21, v11, 0, 13
	v_or_b32_e32 v20, 0x1000, v7
	s_wait_alu 0xfffd
	v_cndmask_b32_e32 v16, v16, v12, vcc_lo
	v_lshlrev_b64_e32 v[11:12], 2, v[18:19]
	v_add_co_u32 v14, vcc_lo, s2, v14
	s_wait_alu 0xfffd
	v_add_co_ci_u32_e32 v15, vcc_lo, s3, v15, vcc_lo
	v_and_or_b32 v13, 0x8000, v13, v16
	v_lshrrev_b32_e32 v16, v21, v20
	v_and_or_b32 v3, 0x1ff, v4, v3
	v_add_co_u32 v11, vcc_lo, v14, v11
	s_wait_alu 0xfffd
	v_add_co_ci_u32_e32 v12, vcc_lo, v15, v12, vcc_lo
	v_lshl_or_b32 v1, v13, 16, v1
	v_lshlrev_b32_e32 v13, v21, v16
	v_cmp_ne_u32_e32 vcc_lo, 0, v3
	v_lshrrev_b32_e32 v14, 8, v4
	v_bfe_u32 v19, v4, 20, 11
	s_mul_u64 s[2:3], s[4:5], 0x618
	v_mul_f64_e32 v[5:6], s[8:9], v[5:6]
	s_wait_alu 0xfffd
	v_cndmask_b32_e64 v3, 0, 1, vcc_lo
	v_cmp_ne_u32_e32 vcc_lo, v13, v20
	v_add_nc_u32_e32 v20, 0xfffffc10, v23
	v_sub_nc_u32_e32 v17, 0x3f1, v19
	global_store_b32 v[11:12], v22, off
	v_and_or_b32 v3, 0xffe, v14, v3
	s_wait_alu 0xfffd
	v_cndmask_b32_e64 v15, 0, 1, vcc_lo
	v_cvt_f64_f32_e32 v[13:14], v9
	v_lshl_or_b32 v18, v20, 12, v7
	v_cmp_gt_i32_e32 vcc_lo, 1, v20
	v_or_b32_e32 v21, 0x1000, v3
	v_or_b32_e32 v9, v16, v15
	ds_load_2addr_b32 v[15:16], v43 offset0:156 offset1:234
	v_med3_i32 v23, v17, 0, 13
	v_add_nc_u32_e32 v19, 0xfffffc10, v19
	s_wait_alu 0xfffd
	v_cndmask_b32_e32 v9, v18, v9, vcc_lo
	s_wait_alu 0xfffe
	v_add_co_u32 v17, vcc_lo, v11, s2
	v_lshrrev_b32_e32 v24, v23, v21
	s_wait_alu 0xfffd
	v_add_co_ci_u32_e32 v18, vcc_lo, s3, v12, vcc_lo
	v_and_b32_e32 v25, 7, v9
	s_delay_alu instid0(VALU_DEP_3)
	v_lshlrev_b32_e32 v11, v23, v24
	global_store_b32 v[17:18], v1, off
	v_lshrrev_b32_e32 v1, 2, v9
	v_cmp_lt_i32_e32 vcc_lo, 5, v25
	v_cmp_eq_u32_e64 s0, 3, v25
	v_cmp_ne_u32_e64 s1, v11, v21
	v_lshl_or_b32 v11, v19, 12, v3
	s_wait_dscnt 0x0
	v_lshrrev_b32_e32 v21, 16, v15
	s_or_b32 vcc_lo, s0, vcc_lo
	v_cndmask_b32_e64 v9, 0, 1, s1
	s_wait_alu 0xfffe
	v_add_co_ci_u32_e32 v1, vcc_lo, 0, v1, vcc_lo
	v_cmp_ne_u32_e32 vcc_lo, 0, v7
	v_mul_f16_e32 v22, v41, v21
	v_or_b32_e32 v9, v24, v9
	v_and_or_b32 v5, 0x1ff, v6, v5
	v_bfe_u32 v24, v6, 20, 11
	s_wait_alu 0xfffd
	v_cndmask_b32_e64 v7, 0, 1, vcc_lo
	v_cmp_gt_i32_e32 vcc_lo, 1, v19
	v_fmac_f16_e32 v22, v39, v15
	v_lshrrev_b32_e32 v23, 8, v6
	v_mul_f16_e32 v15, v41, v15
	v_lshl_or_b32 v7, v7, 9, 0x7c00
	s_wait_alu 0xfffd
	v_cndmask_b32_e32 v9, v11, v9, vcc_lo
	v_mul_f64_e32 v[11:12], s[8:9], v[13:14]
	v_cmp_gt_i32_e32 vcc_lo, 31, v20
	v_cvt_f32_f16_e32 v13, v22
	s_delay_alu instid0(VALU_DEP_4)
	v_and_b32_e32 v22, 7, v9
	v_lshrrev_b32_e32 v9, 2, v9
	s_wait_alu 0xfffd
	v_cndmask_b32_e32 v1, 0x7c00, v1, vcc_lo
	v_cmp_ne_u32_e32 vcc_lo, 0, v5
	v_cvt_f64_f32_e32 v[13:14], v13
	v_cmp_eq_u32_e64 s0, 3, v22
	s_wait_alu 0xfffd
	v_cndmask_b32_e64 v5, 0, 1, vcc_lo
	v_cmp_eq_u32_e32 vcc_lo, 0x40f, v20
	s_delay_alu instid0(VALU_DEP_2)
	v_and_or_b32 v5, 0xffe, v23, v5
	s_wait_alu 0xfffd
	v_cndmask_b32_e32 v1, v1, v7, vcc_lo
	v_cmp_lt_i32_e32 vcc_lo, 5, v22
	v_lshrrev_b32_e32 v7, 16, v8
	v_sub_nc_u32_e32 v8, 0x3f1, v24
	v_or_b32_e32 v20, 0x1000, v5
	s_or_b32 vcc_lo, s0, vcc_lo
	s_delay_alu instid0(VALU_DEP_3) | instskip(NEXT) | instid1(VALU_DEP_3)
	v_and_or_b32 v1, 0x8000, v7, v1
	v_med3_i32 v22, v8, 0, 13
	v_fma_f16 v8, v39, v21, -v15
	s_wait_alu 0xfffe
	v_add_co_ci_u32_e32 v9, vcc_lo, 0, v9, vcc_lo
	v_cmp_ne_u32_e32 vcc_lo, 0, v3
	v_lshrrev_b32_e32 v15, v22, v20
	v_cvt_f32_f16_e32 v8, v8
	v_and_b32_e32 v1, 0xffff, v1
	s_movk_i32 s0, 0xfb20
	s_wait_alu 0xfffd
	v_cndmask_b32_e64 v3, 0, 1, vcc_lo
	v_cmp_gt_i32_e32 vcc_lo, 31, v19
	v_cvt_f64_f32_e32 v[7:8], v8
	v_lshlrev_b32_e32 v21, v22, v15
	v_lshrrev_b32_e32 v22, 8, v12
	v_lshl_or_b32 v3, v3, 9, 0x7c00
	s_wait_alu 0xfffd
	v_cndmask_b32_e32 v9, 0x7c00, v9, vcc_lo
	v_cmp_eq_u32_e32 vcc_lo, 0x40f, v19
	v_bfe_u32 v23, v12, 20, 11
	s_mov_b32 s1, -1
	s_wait_alu 0xfffe
	s_mul_u64 s[4:5], s[4:5], s[0:1]
	s_wait_alu 0xfffd
	v_cndmask_b32_e32 v9, v9, v3, vcc_lo
	v_and_or_b32 v3, 0x1ff, v12, v11
	v_cmp_ne_u32_e32 vcc_lo, v21, v20
	v_lshrrev_b32_e32 v11, 16, v4
	v_lshrrev_b32_e32 v12, 16, v12
	s_wait_alu 0xfffd
	v_cndmask_b32_e64 v19, 0, 1, vcc_lo
	v_cmp_ne_u32_e32 vcc_lo, 0, v3
	v_mul_f64_e32 v[3:4], s[8:9], v[13:14]
	v_and_or_b32 v9, 0x8000, v11, v9
	v_sub_nc_u32_e32 v14, 0x3f1, v23
	v_or_b32_e32 v11, v15, v19
	s_wait_alu 0xfffd
	v_cndmask_b32_e64 v21, 0, 1, vcc_lo
	v_add_nc_u32_e32 v20, 0xfffffc10, v24
	v_lshl_or_b32 v1, v9, 16, v1
	v_lshrrev_b32_e32 v24, 16, v10
	s_delay_alu instid0(VALU_DEP_4) | instskip(NEXT) | instid1(VALU_DEP_4)
	v_and_or_b32 v15, 0xffe, v22, v21
	v_lshl_or_b32 v13, v20, 12, v5
	v_cmp_gt_i32_e32 vcc_lo, 1, v20
	v_med3_i32 v21, v14, 0, 13
	s_delay_alu instid0(VALU_DEP_4)
	v_or_b32_e32 v19, 0x1000, v15
	s_wait_alu 0xfffd
	v_cndmask_b32_e32 v11, v13, v11, vcc_lo
	s_wait_alu 0xfffe
	v_add_co_u32 v13, vcc_lo, v17, s4
	v_lshrrev_b32_e32 v22, v21, v19
	s_wait_alu 0xfffd
	v_add_co_ci_u32_e32 v14, vcc_lo, s5, v18, vcc_lo
	v_and_b32_e32 v9, 7, v11
	v_mul_f64_e32 v[7:8], s[8:9], v[7:8]
	v_lshlrev_b32_e32 v17, v21, v22
	v_lshrrev_b32_e32 v11, 2, v11
	global_store_b32 v[13:14], v1, off
	v_cmp_lt_i32_e32 vcc_lo, 5, v9
	v_cmp_eq_u32_e64 s0, 3, v9
	v_mul_f16_e32 v9, v38, v24
	v_cmp_ne_u32_e64 s1, v17, v19
	v_add_nc_u32_e32 v19, 0xfffffc10, v23
	s_delay_alu instid0(VALU_DEP_4) | instskip(NEXT) | instid1(VALU_DEP_3)
	s_or_b32 vcc_lo, s0, vcc_lo
	v_fmac_f16_e32 v9, v37, v10
	s_wait_alu 0xfffe
	v_add_co_ci_u32_e32 v11, vcc_lo, 0, v11, vcc_lo
	v_cndmask_b32_e64 v17, 0, 1, s1
	v_cmp_ne_u32_e32 vcc_lo, 0, v5
	v_cvt_f32_f16_e32 v9, v9
	v_and_or_b32 v3, 0x1ff, v4, v3
	s_delay_alu instid0(VALU_DEP_4)
	v_or_b32_e32 v21, v22, v17
	v_lshl_or_b32 v22, v19, 12, v15
	s_wait_alu 0xfffd
	v_cndmask_b32_e64 v5, 0, 1, vcc_lo
	v_cmp_gt_i32_e32 vcc_lo, 1, v19
	v_cvt_f64_f32_e32 v[17:18], v9
	s_delay_alu instid0(VALU_DEP_3)
	v_lshl_or_b32 v5, v5, 9, 0x7c00
	s_wait_alu 0xfffd
	v_cndmask_b32_e32 v9, v22, v21, vcc_lo
	v_cmp_ne_u32_e32 vcc_lo, 0, v3
	v_lshrrev_b32_e32 v21, 8, v4
	v_bfe_u32 v22, v4, 20, 11
	v_lshrrev_b32_e32 v4, 16, v4
	v_and_b32_e32 v23, 7, v9
	s_wait_alu 0xfffd
	v_cndmask_b32_e64 v3, 0, 1, vcc_lo
	v_cmp_gt_i32_e32 vcc_lo, 31, v20
	s_delay_alu instid0(VALU_DEP_3) | instskip(NEXT) | instid1(VALU_DEP_3)
	v_cmp_eq_u32_e64 s0, 3, v23
	v_and_or_b32 v3, 0xffe, v21, v3
	s_wait_alu 0xfffd
	v_cndmask_b32_e32 v11, 0x7c00, v11, vcc_lo
	v_sub_nc_u32_e32 v21, 0x3f1, v22
	v_cmp_eq_u32_e32 vcc_lo, 0x40f, v20
	v_and_or_b32 v7, 0x1ff, v8, v7
	v_add_nc_u32_e32 v22, 0xfffffc10, v22
	s_delay_alu instid0(VALU_DEP_4)
	v_med3_i32 v20, v21, 0, 13
	s_wait_alu 0xfffd
	v_cndmask_b32_e32 v11, v11, v5, vcc_lo
	v_or_b32_e32 v5, 0x1000, v3
	v_cmp_lt_i32_e32 vcc_lo, 5, v23
	v_lshrrev_b32_e32 v21, 16, v6
	v_lshrrev_b32_e32 v6, 2, v9
	v_mul_f16_e32 v9, v38, v10
	v_lshrrev_b32_e32 v23, v20, v5
	s_or_b32 vcc_lo, s0, vcc_lo
	v_lshrrev_b32_e32 v10, 8, v8
	s_wait_alu 0xfffe
	v_add_co_ci_u32_e32 v25, vcc_lo, 0, v6, vcc_lo
	v_lshlrev_b32_e32 v6, v20, v23
	v_cmp_ne_u32_e32 vcc_lo, 0, v7
	v_fma_f16 v9, v37, v24, -v9
	v_bfe_u32 v20, v8, 20, 11
	v_and_or_b32 v1, 0x8000, v21, v11
	s_wait_alu 0xfffd
	v_cndmask_b32_e64 v7, 0, 1, vcc_lo
	v_cmp_ne_u32_e32 vcc_lo, v6, v5
	v_sub_nc_u32_e32 v26, 0x3f1, v20
	v_cvt_f32_f16_e32 v9, v9
	v_mul_f64_e32 v[5:6], s[8:9], v[17:18]
	v_and_or_b32 v7, 0xffe, v10, v7
	s_wait_alu 0xfffd
	v_cndmask_b32_e64 v24, 0, 1, vcc_lo
	v_cmp_ne_u32_e32 vcc_lo, 0, v15
	v_lshl_or_b32 v18, v22, 12, v3
	v_cvt_f64_f32_e32 v[9:10], v9
	v_add_nc_u32_e32 v20, 0xfffffc10, v20
	v_or_b32_e32 v17, v23, v24
	s_wait_alu 0xfffd
	v_cndmask_b32_e64 v15, 0, 1, vcc_lo
	v_cmp_gt_i32_e32 vcc_lo, 31, v19
	v_or_b32_e32 v23, 0x1000, v7
	v_med3_i32 v24, v26, 0, 13
	s_delay_alu instid0(VALU_DEP_4)
	v_lshl_or_b32 v15, v15, 9, 0x7c00
	s_wait_alu 0xfffd
	v_cndmask_b32_e32 v25, 0x7c00, v25, vcc_lo
	v_cmp_gt_i32_e32 vcc_lo, 1, v22
	s_wait_alu 0xfffd
	v_cndmask_b32_e32 v17, v18, v17, vcc_lo
	v_lshrrev_b32_e32 v18, v24, v23
	v_cmp_eq_u32_e32 vcc_lo, 0x40f, v19
	s_delay_alu instid0(VALU_DEP_3) | instskip(SKIP_1) | instid1(VALU_DEP_3)
	v_and_b32_e32 v19, 7, v17
	s_wait_alu 0xfffd
	v_dual_cndmask_b32 v15, v25, v15 :: v_dual_lshlrev_b32 v24, v24, v18
	s_delay_alu instid0(VALU_DEP_2) | instskip(NEXT) | instid1(VALU_DEP_2)
	v_cmp_lt_i32_e32 vcc_lo, 5, v19
	v_cmp_ne_u32_e64 s0, v24, v23
	s_delay_alu instid0(VALU_DEP_3) | instskip(SKIP_2) | instid1(VALU_DEP_3)
	v_and_or_b32 v15, 0x8000, v12, v15
	v_lshl_or_b32 v12, v20, 12, v7
	s_wait_alu 0xf1ff
	v_cndmask_b32_e64 v11, 0, 1, s0
	v_cmp_eq_u32_e64 s0, 3, v19
	v_and_b32_e32 v19, 0xffff, v1
	v_lshrrev_b32_e32 v1, 2, v17
	v_and_or_b32 v5, 0x1ff, v6, v5
	v_or_b32_e32 v11, v18, v11
	s_or_b32 vcc_lo, s0, vcc_lo
	v_lshrrev_b32_e32 v18, 16, v16
	s_wait_alu 0xfffe
	v_add_co_ci_u32_e32 v1, vcc_lo, 0, v1, vcc_lo
	v_cmp_ne_u32_e32 vcc_lo, 0, v3
	v_mul_f64_e32 v[9:10], s[8:9], v[9:10]
	v_lshrrev_b32_e32 v21, 8, v6
	v_bfe_u32 v23, v6, 20, 11
	v_lshl_or_b32 v19, v15, 16, v19
	s_wait_alu 0xfffd
	v_cndmask_b32_e64 v3, 0, 1, vcc_lo
	v_cmp_gt_i32_e32 vcc_lo, 1, v20
	v_lshrrev_b32_e32 v6, 16, v6
	s_delay_alu instid0(VALU_DEP_3) | instskip(SKIP_4) | instid1(VALU_DEP_3)
	v_lshl_or_b32 v3, v3, 9, 0x7c00
	s_wait_alu 0xfffd
	v_cndmask_b32_e32 v17, v12, v11, vcc_lo
	v_cmp_gt_i32_e32 vcc_lo, 31, v22
	v_mul_f16_e32 v11, v36, v18
	v_and_b32_e32 v12, 7, v17
	s_wait_alu 0xfffd
	v_cndmask_b32_e32 v1, 0x7c00, v1, vcc_lo
	v_cmp_ne_u32_e32 vcc_lo, 0, v5
	v_fmac_f16_e32 v11, v35, v16
	v_cmp_eq_u32_e64 s0, 3, v12
	s_wait_alu 0xfffd
	v_cndmask_b32_e64 v5, 0, 1, vcc_lo
	v_cmp_eq_u32_e32 vcc_lo, 0x40f, v22
	s_delay_alu instid0(VALU_DEP_2)
	v_and_or_b32 v5, 0xffe, v21, v5
	s_wait_alu 0xfffd
	v_cndmask_b32_e32 v1, v1, v3, vcc_lo
	v_cvt_f32_f16_e32 v3, v11
	v_cmp_lt_i32_e32 vcc_lo, 5, v12
	v_sub_nc_u32_e32 v21, 0x3f1, v23
	s_delay_alu instid0(VALU_DEP_4) | instskip(NEXT) | instid1(VALU_DEP_4)
	v_and_or_b32 v24, 0x8000, v4, v1
	v_cvt_f64_f32_e32 v[11:12], v3
	v_lshrrev_b32_e32 v3, 2, v17
	s_or_b32 vcc_lo, s0, vcc_lo
	v_or_b32_e32 v17, 0x1000, v5
	v_med3_i32 v21, v21, 0, 13
	v_mul_f16_e32 v1, v36, v16
	s_wait_alu 0xfffe
	v_add_co_ci_u32_e32 v3, vcc_lo, 0, v3, vcc_lo
	v_cmp_ne_u32_e32 vcc_lo, 0, v7
	v_lshrrev_b32_e32 v22, v21, v17
	v_fma_f16 v1, v35, v18, -v1
	v_bfe_u32 v18, v10, 20, 11
	s_wait_alu 0xfffd
	v_cndmask_b32_e64 v7, 0, 1, vcc_lo
	v_cmp_gt_i32_e32 vcc_lo, 31, v20
	v_lshlrev_b32_e32 v4, v21, v22
	v_cvt_f32_f16_e32 v1, v1
	s_delay_alu instid0(VALU_DEP_4)
	v_lshl_or_b32 v7, v7, 9, 0x7c00
	s_wait_alu 0xfffd
	v_cndmask_b32_e32 v3, 0x7c00, v3, vcc_lo
	v_cmp_eq_u32_e32 vcc_lo, 0x40f, v20
	v_lshrrev_b32_e32 v20, 16, v8
	s_wait_alu 0xfffd
	s_delay_alu instid0(VALU_DEP_3)
	v_cndmask_b32_e32 v16, v3, v7, vcc_lo
	v_and_or_b32 v3, 0x1ff, v10, v9
	v_cmp_ne_u32_e32 vcc_lo, v4, v17
	v_lshrrev_b32_e32 v17, 8, v10
	v_add_nc_u32_e32 v9, 0xfffffc10, v23
	v_and_or_b32 v15, 0x8000, v20, v16
	v_and_b32_e32 v16, 0xffff, v24
	s_wait_alu 0xfffd
	v_cndmask_b32_e64 v7, 0, 1, vcc_lo
	v_cmp_ne_u32_e32 vcc_lo, 0, v3
	v_cvt_f64_f32_e32 v[3:4], v1
	v_lshl_or_b32 v21, v9, 12, v5
	ds_load_2addr_b32 v[1:2], v2 offset0:112 offset1:190
	v_or_b32_e32 v7, v22, v7
	s_wait_alu 0xfffd
	v_cndmask_b32_e64 v8, 0, 1, vcc_lo
	v_sub_nc_u32_e32 v22, 0x3f1, v18
	v_cmp_gt_i32_e32 vcc_lo, 1, v9
	v_add_nc_u32_e32 v18, 0xfffffc10, v18
	v_lshl_or_b32 v25, v15, 16, v16
	v_and_or_b32 v17, 0xffe, v17, v8
	v_med3_i32 v22, v22, 0, 13
	s_wait_alu 0xfffd
	v_cndmask_b32_e32 v21, v21, v7, vcc_lo
	v_mul_f64_e32 v[7:8], s[8:9], v[11:12]
	v_add_co_u32 v11, vcc_lo, v13, s2
	v_or_b32_e32 v23, 0x1000, v17
	s_delay_alu instid0(VALU_DEP_4)
	v_and_b32_e32 v20, 7, v21
	s_wait_alu 0xfffd
	v_add_co_ci_u32_e32 v12, vcc_lo, s3, v14, vcc_lo
	v_lshrrev_b32_e32 v14, 2, v21
	v_lshrrev_b32_e32 v24, v22, v23
	v_cmp_lt_i32_e32 vcc_lo, 5, v20
	v_cmp_eq_u32_e64 s0, 3, v20
	s_wait_dscnt 0x0
	v_lshrrev_b32_e32 v20, 16, v1
	v_lshl_or_b32 v16, v18, 12, v17
	v_lshlrev_b32_e32 v13, v22, v24
	s_or_b32 vcc_lo, s0, vcc_lo
	s_delay_alu instid0(VALU_DEP_3)
	v_mul_f16_e32 v15, v34, v20
	s_wait_alu 0xfffe
	v_add_co_ci_u32_e32 v14, vcc_lo, 0, v14, vcc_lo
	v_cmp_ne_u32_e64 s1, v13, v23
	v_cmp_ne_u32_e32 vcc_lo, 0, v5
	v_fmac_f16_e32 v15, v33, v1
	v_mul_f16_e32 v1, v34, v1
	s_wait_alu 0xf1ff
	v_cndmask_b32_e64 v13, 0, 1, s1
	s_wait_alu 0xfffd
	v_cndmask_b32_e64 v5, 0, 1, vcc_lo
	v_cmp_gt_i32_e32 vcc_lo, 1, v18
	v_mul_f64_e32 v[3:4], s[8:9], v[3:4]
	v_fma_f16 v1, v33, v20, -v1
	v_or_b32_e32 v13, v24, v13
	v_lshl_or_b32 v5, v5, 9, 0x7c00
	s_delay_alu instid0(VALU_DEP_3) | instskip(SKIP_1) | instid1(VALU_DEP_3)
	v_cvt_f32_f16_e32 v1, v1
	s_wait_alu 0xfffd
	v_cndmask_b32_e32 v21, v16, v13, vcc_lo
	v_cmp_gt_i32_e32 vcc_lo, 31, v9
	v_cvt_f32_f16_e32 v13, v15
	v_and_or_b32 v7, 0x1ff, v8, v7
	s_wait_alu 0xfffd
	v_cndmask_b32_e32 v22, 0x7c00, v14, vcc_lo
	v_add_co_u32 v15, vcc_lo, v11, s4
	s_wait_alu 0xfffd
	v_add_co_ci_u32_e32 v16, vcc_lo, s5, v12, vcc_lo
	v_cmp_eq_u32_e32 vcc_lo, 0x40f, v9
	v_cvt_f64_f32_e32 v[13:14], v13
	v_cmp_ne_u32_e64 s0, 0, v7
	v_lshrrev_b32_e32 v9, 8, v8
	s_clause 0x1
	global_store_b32 v[11:12], v19, off
	global_store_b32 v[15:16], v25, off
	s_wait_alu 0xfffd
	v_cndmask_b32_e32 v5, v22, v5, vcc_lo
	v_bfe_u32 v22, v8, 20, 11
	s_wait_alu 0xf1ff
	v_cndmask_b32_e64 v7, 0, 1, s0
	v_lshrrev_b32_e32 v8, 16, v8
	v_and_or_b32 v24, 0x8000, v6, v5
	v_add_nc_u32_e32 v20, 0xfffffc10, v22
	v_and_b32_e32 v23, 7, v21
	v_lshrrev_b32_e32 v21, 2, v21
	v_and_or_b32 v7, 0xffe, v9, v7
	v_sub_nc_u32_e32 v9, 0x3f1, v22
	v_cmp_eq_u32_e64 s1, 0x40f, v20
	v_cmp_lt_i32_e32 vcc_lo, 5, v23
	v_cmp_eq_u32_e64 s0, 3, v23
	v_or_b32_e32 v23, 0x1000, v7
	v_med3_i32 v9, v9, 0, 13
	v_and_or_b32 v3, 0x1ff, v4, v3
	v_lshl_or_b32 v22, v20, 12, v7
	s_or_b32 vcc_lo, s0, vcc_lo
	s_wait_alu 0xfffe
	v_add_co_ci_u32_e32 v21, vcc_lo, 0, v21, vcc_lo
	v_cmp_ne_u32_e32 vcc_lo, 0, v17
	v_lshrrev_b32_e32 v26, v9, v23
	s_wait_alu 0xfffd
	v_cndmask_b32_e64 v17, 0, 1, vcc_lo
	v_cmp_gt_i32_e32 vcc_lo, 31, v18
	s_delay_alu instid0(VALU_DEP_3) | instskip(NEXT) | instid1(VALU_DEP_3)
	v_lshlrev_b32_e32 v9, v9, v26
	v_lshl_or_b32 v17, v17, 9, 0x7c00
	s_wait_alu 0xfffd
	v_cndmask_b32_e32 v21, 0x7c00, v21, vcc_lo
	v_cmp_eq_u32_e32 vcc_lo, 0x40f, v18
	v_lshrrev_b32_e32 v18, 16, v10
	v_lshrrev_b32_e32 v10, 8, v4
	v_mul_f64_e32 v[5:6], s[8:9], v[13:14]
	s_wait_alu 0xfffd
	v_cndmask_b32_e32 v17, v21, v17, vcc_lo
	v_cmp_ne_u32_e32 vcc_lo, 0, v3
	v_bfe_u32 v21, v4, 20, 11
	v_lshrrev_b32_e32 v4, 16, v4
	s_wait_alu 0xfffd
	v_cndmask_b32_e64 v3, 0, 1, vcc_lo
	v_cmp_ne_u32_e32 vcc_lo, v9, v23
	v_sub_nc_u32_e32 v13, 0x3f1, v21
	s_delay_alu instid0(VALU_DEP_3) | instskip(SKIP_3) | instid1(VALU_DEP_3)
	v_and_or_b32 v3, 0xffe, v10, v3
	s_wait_alu 0xfffd
	v_cndmask_b32_e64 v9, 0, 1, vcc_lo
	v_cmp_gt_i32_e32 vcc_lo, 1, v20
	v_or_b32_e32 v23, 0x1000, v3
	s_delay_alu instid0(VALU_DEP_3)
	v_or_b32_e32 v14, v26, v9
	v_cvt_f64_f32_e32 v[9:10], v1
	v_med3_i32 v1, v13, 0, 13
	v_and_or_b32 v13, 0x8000, v18, v17
	s_wait_alu 0xfffd
	v_dual_cndmask_b32 v14, v22, v14 :: v_dual_and_b32 v17, 0xffff, v24
	v_add_co_u32 v11, vcc_lo, v15, s2
	v_lshrrev_b32_e32 v18, v1, v23
	s_delay_alu instid0(VALU_DEP_3) | instskip(NEXT) | instid1(VALU_DEP_4)
	v_lshl_or_b32 v17, v13, 16, v17
	v_and_b32_e32 v13, 7, v14
	v_lshrrev_b32_e32 v15, 16, v0
	s_wait_alu 0xfffd
	v_add_co_ci_u32_e32 v12, vcc_lo, s3, v16, vcc_lo
	v_lshlrev_b32_e32 v1, v1, v18
	v_cmp_lt_i32_e32 vcc_lo, 5, v13
	v_add_nc_u32_e32 v16, 0xfffffc10, v21
	v_mul_f16_e32 v19, v32, v15
	s_delay_alu instid0(VALU_DEP_4) | instskip(SKIP_2) | instid1(VALU_DEP_4)
	v_cmp_ne_u32_e64 s0, v1, v23
	v_and_or_b32 v5, 0x1ff, v6, v5
	v_bfe_u32 v21, v6, 20, 11
	v_fmac_f16_e32 v19, v31, v0
	s_wait_alu 0xf1ff
	v_cndmask_b32_e64 v1, 0, 1, s0
	v_cmp_eq_u32_e64 s0, 3, v13
	v_lshrrev_b32_e32 v13, 2, v14
	v_lshl_or_b32 v14, v16, 12, v3
	s_delay_alu instid0(VALU_DEP_4) | instskip(NEXT) | instid1(VALU_DEP_4)
	v_or_b32_e32 v1, v18, v1
	s_or_b32 vcc_lo, s0, vcc_lo
	s_wait_alu 0xfffe
	v_add_co_ci_u32_e32 v18, vcc_lo, 0, v13, vcc_lo
	v_cmp_gt_i32_e32 vcc_lo, 1, v16
	v_cvt_f32_f16_e32 v13, v19
	v_lshrrev_b32_e32 v19, 8, v6
	v_lshrrev_b32_e32 v6, 16, v6
	s_wait_alu 0xfffd
	v_cndmask_b32_e32 v1, v14, v1, vcc_lo
	v_cmp_ne_u32_e32 vcc_lo, 0, v5
	v_cvt_f64_f32_e32 v[13:14], v13
	v_mul_f64_e32 v[9:10], s[8:9], v[9:10]
	s_delay_alu instid0(VALU_DEP_4)
	v_and_b32_e32 v22, 7, v1
	s_wait_alu 0xfffd
	v_cndmask_b32_e64 v5, 0, 1, vcc_lo
	v_cmp_ne_u32_e32 vcc_lo, 0, v7
	v_lshrrev_b32_e32 v1, 2, v1
	v_cmp_eq_u32_e64 s0, 3, v22
	s_delay_alu instid0(VALU_DEP_4)
	v_and_or_b32 v5, 0xffe, v19, v5
	s_wait_alu 0xfffd
	v_cndmask_b32_e64 v7, 0, 1, vcc_lo
	v_cmp_gt_i32_e32 vcc_lo, 31, v20
	v_sub_nc_u32_e32 v19, 0x3f1, v21
	v_add_nc_u32_e32 v20, 0xfffffc10, v21
	v_or_b32_e32 v23, 0x1000, v5
	v_lshl_or_b32 v7, v7, 9, 0x7c00
	s_wait_alu 0xfffd
	v_cndmask_b32_e32 v18, 0x7c00, v18, vcc_lo
	v_cmp_lt_i32_e32 vcc_lo, 5, v22
	v_med3_i32 v19, v19, 0, 13
	s_delay_alu instid0(VALU_DEP_3) | instskip(SKIP_1) | instid1(VALU_DEP_2)
	v_cndmask_b32_e64 v7, v18, v7, s1
	s_or_b32 vcc_lo, s0, vcc_lo
	v_lshrrev_b32_e32 v18, v19, v23
	s_wait_alu 0xfffe
	v_add_co_ci_u32_e32 v1, vcc_lo, 0, v1, vcc_lo
	v_cmp_ne_u32_e32 vcc_lo, 0, v3
	v_and_or_b32 v7, 0x8000, v8, v7
	v_lshlrev_b32_e32 v19, v19, v18
	s_wait_alu 0xfffd
	v_cndmask_b32_e64 v3, 0, 1, vcc_lo
	v_cmp_gt_i32_e32 vcc_lo, 31, v16
	v_and_b32_e32 v7, 0xffff, v7
	s_delay_alu instid0(VALU_DEP_3)
	v_lshl_or_b32 v3, v3, 9, 0x7c00
	s_wait_alu 0xfffd
	v_cndmask_b32_e32 v1, 0x7c00, v1, vcc_lo
	v_cmp_ne_u32_e32 vcc_lo, v19, v23
	v_and_or_b32 v9, 0x1ff, v10, v9
	s_wait_alu 0xfffd
	v_cndmask_b32_e64 v19, 0, 1, vcc_lo
	v_cmp_eq_u32_e32 vcc_lo, 0x40f, v16
	v_mul_f16_e32 v16, v32, v0
	s_delay_alu instid0(VALU_DEP_3)
	v_or_b32_e32 v8, v18, v19
	s_wait_alu 0xfffd
	v_cndmask_b32_e32 v3, v1, v3, vcc_lo
	v_mul_f64_e32 v[0:1], s[8:9], v[13:14]
	v_lshl_or_b32 v13, v20, 12, v5
	v_cmp_gt_i32_e32 vcc_lo, 1, v20
	v_fma_f16 v14, v31, v15, -v16
	v_bfe_u32 v15, v10, 20, 11
	v_and_or_b32 v16, 0x8000, v4, v3
	s_wait_alu 0xfffd
	v_cndmask_b32_e32 v8, v13, v8, vcc_lo
	v_cmp_ne_u32_e32 vcc_lo, 0, v9
	v_cvt_f32_f16_e32 v13, v14
	v_lshrrev_b32_e32 v14, 8, v10
	v_lshl_or_b32 v16, v16, 16, v7
	v_and_b32_e32 v18, 7, v8
	s_wait_alu 0xfffd
	v_cndmask_b32_e64 v9, 0, 1, vcc_lo
	v_cvt_f64_f32_e32 v[3:4], v13
	v_sub_nc_u32_e32 v13, 0x3f1, v15
	v_lshrrev_b32_e32 v7, 2, v8
	v_cmp_lt_i32_e32 vcc_lo, 5, v18
	v_and_or_b32 v9, 0xffe, v14, v9
	v_lshrrev_b32_e32 v14, 16, v2
	v_cmp_eq_u32_e64 s0, 3, v18
	v_med3_i32 v13, v13, 0, 13
	v_add_nc_u32_e32 v15, 0xfffffc10, v15
	v_or_b32_e32 v19, 0x1000, v9
	v_mul_f16_e32 v21, v30, v14
	s_or_b32 vcc_lo, s0, vcc_lo
	s_wait_alu 0xfffe
	v_add_co_ci_u32_e32 v7, vcc_lo, 0, v7, vcc_lo
	s_delay_alu instid0(VALU_DEP_2) | instskip(SKIP_3) | instid1(VALU_DEP_4)
	v_fmac_f16_e32 v21, v29, v2
	v_cmp_ne_u32_e32 vcc_lo, 0, v5
	v_lshrrev_b32_e32 v18, v13, v19
	v_mul_f16_e32 v2, v30, v2
	v_cvt_f32_f16_e32 v8, v21
	s_wait_alu 0xfffd
	v_cndmask_b32_e64 v5, 0, 1, vcc_lo
	v_cmp_gt_i32_e32 vcc_lo, 31, v20
	v_lshlrev_b32_e32 v13, v13, v18
	v_and_or_b32 v0, 0x1ff, v1, v0
	v_fma_f16 v14, v29, v14, -v2
	v_lshl_or_b32 v22, v5, 9, 0x7c00
	s_wait_alu 0xfffd
	v_cndmask_b32_e32 v21, 0x7c00, v7, vcc_lo
	v_cvt_f64_f32_e32 v[7:8], v8
	v_cmp_ne_u32_e32 vcc_lo, v13, v19
	v_lshrrev_b32_e32 v13, 8, v1
	v_lshl_or_b32 v19, v15, 12, v9
	s_wait_alu 0xfffd
	v_cndmask_b32_e64 v5, 0, 1, vcc_lo
	v_cmp_ne_u32_e32 vcc_lo, 0, v0
	v_mul_f64_e32 v[2:3], s[8:9], v[3:4]
	s_delay_alu instid0(VALU_DEP_3)
	v_or_b32_e32 v5, v18, v5
	s_wait_alu 0xfffd
	v_cndmask_b32_e64 v0, 0, 1, vcc_lo
	v_bfe_u32 v18, v1, 20, 11
	v_cmp_gt_i32_e32 vcc_lo, 1, v15
	v_lshrrev_b32_e32 v1, 16, v1
	s_delay_alu instid0(VALU_DEP_4) | instskip(NEXT) | instid1(VALU_DEP_4)
	v_and_or_b32 v0, 0xffe, v13, v0
	v_sub_nc_u32_e32 v4, 0x3f1, v18
	s_wait_alu 0xfffd
	v_cndmask_b32_e32 v19, v19, v5, vcc_lo
	v_cmp_eq_u32_e32 vcc_lo, 0x40f, v20
	v_cvt_f32_f16_e32 v13, v14
	v_or_b32_e32 v23, 0x1000, v0
	v_med3_i32 v24, v4, 0, 13
	v_add_nc_u32_e32 v18, 0xfffffc10, v18
	s_wait_alu 0xfffd
	v_dual_cndmask_b32 v20, v21, v22 :: v_dual_and_b32 v21, 7, v19
	v_cvt_f64_f32_e32 v[4:5], v13
	v_add_co_u32 v13, vcc_lo, v11, s4
	v_lshrrev_b32_e32 v22, v24, v23
	s_wait_alu 0xfffd
	v_add_co_ci_u32_e32 v14, vcc_lo, s5, v12, vcc_lo
	v_cmp_lt_i32_e32 vcc_lo, 5, v21
	v_cmp_eq_u32_e64 s0, 3, v21
	v_lshrrev_b32_e32 v19, 2, v19
	v_lshlrev_b32_e32 v24, v24, v22
	v_and_or_b32 v20, 0x8000, v6, v20
	v_mul_f64_e32 v[6:7], s[8:9], v[7:8]
	s_or_b32 vcc_lo, s0, vcc_lo
	s_wait_alu 0xfffe
	v_add_co_ci_u32_e32 v8, vcc_lo, 0, v19, vcc_lo
	v_cmp_ne_u32_e64 s1, v24, v23
	v_cmp_ne_u32_e32 vcc_lo, 0, v9
	s_wait_alu 0xf1ff
	s_delay_alu instid0(VALU_DEP_2)
	v_cndmask_b32_e64 v21, 0, 1, s1
	s_wait_alu 0xfffd
	v_cndmask_b32_e64 v9, 0, 1, vcc_lo
	v_cmp_gt_i32_e32 vcc_lo, 31, v15
	v_and_or_b32 v2, 0x1ff, v3, v2
	v_or_b32_e32 v19, v22, v21
	v_lshl_or_b32 v21, v18, 12, v0
	s_wait_alu 0xfffd
	v_cndmask_b32_e32 v8, 0x7c00, v8, vcc_lo
	v_cmp_gt_i32_e32 vcc_lo, 1, v18
	v_lshl_or_b32 v9, v9, 9, 0x7c00
	s_wait_alu 0xfffd
	v_cndmask_b32_e32 v19, v21, v19, vcc_lo
	v_cmp_eq_u32_e32 vcc_lo, 0x40f, v15
	v_lshrrev_b32_e32 v15, 8, v3
	v_bfe_u32 v21, v3, 20, 11
	v_mul_f64_e32 v[4:5], s[8:9], v[4:5]
	v_lshrrev_b32_e32 v3, 16, v3
	s_wait_alu 0xfffd
	v_cndmask_b32_e32 v8, v8, v9, vcc_lo
	v_lshrrev_b32_e32 v9, 16, v10
	v_cmp_ne_u32_e32 vcc_lo, 0, v2
	v_and_b32_e32 v10, 7, v19
	s_delay_alu instid0(VALU_DEP_3)
	v_and_or_b32 v8, 0x8000, v9, v8
	v_and_b32_e32 v9, 0xffff, v20
	s_wait_alu 0xfffd
	v_cndmask_b32_e64 v2, 0, 1, vcc_lo
	v_cmp_lt_i32_e32 vcc_lo, 5, v10
	v_cmp_eq_u32_e64 s0, 3, v10
	v_and_or_b32 v6, 0x1ff, v7, v6
	v_lshl_or_b32 v8, v8, 16, v9
	v_lshrrev_b32_e32 v9, 2, v19
	v_and_or_b32 v2, 0xffe, v15, v2
	v_sub_nc_u32_e32 v15, 0x3f1, v21
	s_or_b32 vcc_lo, s0, vcc_lo
	v_lshrrev_b32_e32 v20, 8, v7
	s_wait_alu 0xfffe
	v_add_co_ci_u32_e32 v9, vcc_lo, 0, v9, vcc_lo
	v_or_b32_e32 v10, 0x1000, v2
	v_med3_i32 v15, v15, 0, 13
	v_cmp_ne_u32_e32 vcc_lo, 0, v0
	v_bfe_u32 v22, v7, 20, 11
	v_lshrrev_b32_e32 v7, 16, v7
	s_delay_alu instid0(VALU_DEP_4) | instskip(SKIP_3) | instid1(VALU_DEP_3)
	v_lshrrev_b32_e32 v19, v15, v10
	s_wait_alu 0xfffd
	v_cndmask_b32_e64 v0, 0, 1, vcc_lo
	v_cmp_gt_i32_e32 vcc_lo, 31, v18
	v_lshlrev_b32_e32 v15, v15, v19
	s_delay_alu instid0(VALU_DEP_3)
	v_lshl_or_b32 v0, v0, 9, 0x7c00
	s_wait_alu 0xfffd
	v_cndmask_b32_e32 v9, 0x7c00, v9, vcc_lo
	v_cmp_ne_u32_e32 vcc_lo, 0, v6
	v_and_or_b32 v4, 0x1ff, v5, v4
	s_wait_alu 0xfffd
	v_cndmask_b32_e64 v6, 0, 1, vcc_lo
	v_cmp_ne_u32_e32 vcc_lo, v15, v10
	v_add_nc_u32_e32 v15, 0xfffffc10, v21
	v_bfe_u32 v21, v5, 20, 11
	s_delay_alu instid0(VALU_DEP_4)
	v_and_or_b32 v6, 0xffe, v20, v6
	s_wait_alu 0xfffd
	v_cndmask_b32_e64 v10, 0, 1, vcc_lo
	v_sub_nc_u32_e32 v20, 0x3f1, v22
	v_cmp_eq_u32_e32 vcc_lo, 0x40f, v18
	v_or_b32_e32 v18, 0x1000, v6
	s_wait_alu 0xfffd
	v_cndmask_b32_e32 v0, v9, v0, vcc_lo
	v_or_b32_e32 v9, v19, v10
	v_lshl_or_b32 v10, v15, 12, v2
	v_med3_i32 v19, v20, 0, 13
	v_cmp_gt_i32_e32 vcc_lo, 1, v15
	v_lshrrev_b32_e32 v20, 8, v5
	v_and_or_b32 v0, 0x8000, v1, v0
	v_lshrrev_b32_e32 v5, 16, v5
	s_wait_alu 0xfffd
	v_cndmask_b32_e32 v9, v10, v9, vcc_lo
	v_lshrrev_b32_e32 v10, v19, v18
	v_cmp_ne_u32_e32 vcc_lo, 0, v4
	s_delay_alu instid0(VALU_DEP_3) | instskip(NEXT) | instid1(VALU_DEP_3)
	v_and_b32_e32 v23, 7, v9
	v_lshlrev_b32_e32 v19, v19, v10
	s_wait_alu 0xfffd
	v_cndmask_b32_e64 v4, 0, 1, vcc_lo
	v_lshrrev_b32_e32 v9, 2, v9
	v_cmp_lt_i32_e32 vcc_lo, 5, v23
	v_cmp_ne_u32_e64 s0, v19, v18
	s_delay_alu instid0(VALU_DEP_4)
	v_and_or_b32 v1, 0xffe, v20, v4
	v_sub_nc_u32_e32 v4, 0x3f1, v21
	v_add_nc_u32_e32 v20, 0xfffffc10, v22
	s_wait_alu 0xf1ff
	v_cndmask_b32_e64 v18, 0, 1, s0
	v_cmp_eq_u32_e64 s0, 3, v23
	v_or_b32_e32 v19, 0x1000, v1
	v_med3_i32 v4, v4, 0, 13
	v_lshl_or_b32 v22, v20, 12, v6
	v_or_b32_e32 v10, v10, v18
	s_or_b32 vcc_lo, s0, vcc_lo
	s_wait_alu 0xfffe
	v_add_co_ci_u32_e32 v9, vcc_lo, 0, v9, vcc_lo
	v_lshrrev_b32_e32 v18, v4, v19
	v_cmp_gt_i32_e32 vcc_lo, 1, v20
	s_delay_alu instid0(VALU_DEP_2)
	v_lshlrev_b32_e32 v4, v4, v18
	s_wait_alu 0xfffd
	v_cndmask_b32_e32 v10, v22, v10, vcc_lo
	v_cmp_ne_u32_e32 vcc_lo, 0, v2
	s_wait_alu 0xfffd
	v_cndmask_b32_e64 v2, 0, 1, vcc_lo
	v_cmp_ne_u32_e32 vcc_lo, v4, v19
	v_add_nc_u32_e32 v19, 0xfffffc10, v21
	v_and_b32_e32 v21, 7, v10
	s_delay_alu instid0(VALU_DEP_4)
	v_lshl_or_b32 v2, v2, 9, 0x7c00
	s_wait_alu 0xfffd
	v_cndmask_b32_e64 v4, 0, 1, vcc_lo
	v_cmp_gt_i32_e32 vcc_lo, 31, v15
	v_cmp_gt_i32_e64 s1, 1, v19
	v_cmp_eq_u32_e64 s0, 3, v21
	s_delay_alu instid0(VALU_DEP_4)
	v_or_b32_e32 v4, v18, v4
	v_lshl_or_b32 v18, v19, 12, v1
	s_wait_alu 0xfffd
	v_cndmask_b32_e32 v9, 0x7c00, v9, vcc_lo
	v_cmp_lt_i32_e32 vcc_lo, 5, v21
	s_wait_alu 0xf1ff
	v_cndmask_b32_e64 v4, v18, v4, s1
	v_cmp_eq_u32_e64 s1, 0x40f, v15
	s_or_b32 vcc_lo, s0, vcc_lo
	s_delay_alu instid0(VALU_DEP_1)
	v_cndmask_b32_e64 v2, v9, v2, s1
	v_lshrrev_b32_e32 v9, 2, v10
	v_and_b32_e32 v10, 7, v4
	v_lshrrev_b32_e32 v4, 2, v4
	v_cmp_gt_i32_e64 s1, 31, v20
	v_and_or_b32 v2, 0x8000, v3, v2
	s_wait_alu 0xfffe
	v_add_co_ci_u32_e32 v9, vcc_lo, 0, v9, vcc_lo
	v_cmp_ne_u32_e32 vcc_lo, 0, v6
	v_cmp_eq_u32_e64 s0, 3, v10
	v_and_b32_e32 v3, 0xffff, v0
	s_wait_alu 0xf1ff
	v_cndmask_b32_e64 v9, 0x7c00, v9, s1
	s_wait_alu 0xfffd
	v_cndmask_b32_e64 v6, 0, 1, vcc_lo
	v_cmp_lt_i32_e32 vcc_lo, 5, v10
	s_delay_alu instid0(VALU_DEP_2)
	v_lshl_or_b32 v6, v6, 9, 0x7c00
	s_or_b32 vcc_lo, s0, vcc_lo
	s_wait_alu 0xfffe
	v_add_co_ci_u32_e32 v4, vcc_lo, 0, v4, vcc_lo
	v_cmp_ne_u32_e32 vcc_lo, 0, v1
	s_wait_alu 0xfffd
	v_cndmask_b32_e64 v1, 0, 1, vcc_lo
	v_cmp_eq_u32_e32 vcc_lo, 0x40f, v20
	s_delay_alu instid0(VALU_DEP_2) | instskip(SKIP_3) | instid1(VALU_DEP_2)
	v_lshl_or_b32 v1, v1, 9, 0x7c00
	s_wait_alu 0xfffd
	v_cndmask_b32_e32 v6, v9, v6, vcc_lo
	v_cmp_gt_i32_e32 vcc_lo, 31, v19
	v_and_or_b32 v6, 0x8000, v7, v6
	s_wait_alu 0xfffd
	v_cndmask_b32_e32 v4, 0x7c00, v4, vcc_lo
	v_cmp_eq_u32_e32 vcc_lo, 0x40f, v19
	v_lshl_or_b32 v7, v2, 16, v3
	s_wait_alu 0xfffd
	s_delay_alu instid0(VALU_DEP_3) | instskip(SKIP_3) | instid1(VALU_DEP_3)
	v_cndmask_b32_e32 v4, v4, v1, vcc_lo
	v_add_co_u32 v0, vcc_lo, v13, s2
	s_wait_alu 0xfffd
	v_add_co_ci_u32_e32 v1, vcc_lo, s3, v14, vcc_lo
	v_and_or_b32 v4, 0x8000, v5, v4
	v_and_b32_e32 v5, 0xffff, v6
	v_add_co_u32 v2, vcc_lo, v0, s4
	s_wait_alu 0xfffd
	v_add_co_ci_u32_e32 v3, vcc_lo, s5, v1, vcc_lo
	s_delay_alu instid0(VALU_DEP_3) | instskip(NEXT) | instid1(VALU_DEP_3)
	v_lshl_or_b32 v6, v4, 16, v5
	v_add_co_u32 v4, vcc_lo, v2, s2
	s_wait_alu 0xfffd
	s_delay_alu instid0(VALU_DEP_3)
	v_add_co_ci_u32_e32 v5, vcc_lo, s3, v3, vcc_lo
	global_store_b32 v[11:12], v17, off
	global_store_b32 v[13:14], v16, off
	;; [unrolled: 1-line block ×5, first 2 shown]
.LBB0_18:
	s_nop 0
	s_sendmsg sendmsg(MSG_DEALLOC_VGPRS)
	s_endpgm
	.section	.rodata,"a",@progbits
	.p2align	6, 0x0
	.amdhsa_kernel bluestein_single_back_len780_dim1_half_op_CI_CI
		.amdhsa_group_segment_fixed_size 9360
		.amdhsa_private_segment_fixed_size 0
		.amdhsa_kernarg_size 104
		.amdhsa_user_sgpr_count 2
		.amdhsa_user_sgpr_dispatch_ptr 0
		.amdhsa_user_sgpr_queue_ptr 0
		.amdhsa_user_sgpr_kernarg_segment_ptr 1
		.amdhsa_user_sgpr_dispatch_id 0
		.amdhsa_user_sgpr_private_segment_size 0
		.amdhsa_wavefront_size32 1
		.amdhsa_uses_dynamic_stack 0
		.amdhsa_enable_private_segment 0
		.amdhsa_system_sgpr_workgroup_id_x 1
		.amdhsa_system_sgpr_workgroup_id_y 0
		.amdhsa_system_sgpr_workgroup_id_z 0
		.amdhsa_system_sgpr_workgroup_info 0
		.amdhsa_system_vgpr_workitem_id 0
		.amdhsa_next_free_vgpr 228
		.amdhsa_next_free_sgpr 20
		.amdhsa_reserve_vcc 1
		.amdhsa_float_round_mode_32 0
		.amdhsa_float_round_mode_16_64 0
		.amdhsa_float_denorm_mode_32 3
		.amdhsa_float_denorm_mode_16_64 3
		.amdhsa_fp16_overflow 0
		.amdhsa_workgroup_processor_mode 1
		.amdhsa_memory_ordered 1
		.amdhsa_forward_progress 0
		.amdhsa_round_robin_scheduling 0
		.amdhsa_exception_fp_ieee_invalid_op 0
		.amdhsa_exception_fp_denorm_src 0
		.amdhsa_exception_fp_ieee_div_zero 0
		.amdhsa_exception_fp_ieee_overflow 0
		.amdhsa_exception_fp_ieee_underflow 0
		.amdhsa_exception_fp_ieee_inexact 0
		.amdhsa_exception_int_div_zero 0
	.end_amdhsa_kernel
	.text
.Lfunc_end0:
	.size	bluestein_single_back_len780_dim1_half_op_CI_CI, .Lfunc_end0-bluestein_single_back_len780_dim1_half_op_CI_CI
                                        ; -- End function
	.section	.AMDGPU.csdata,"",@progbits
; Kernel info:
; codeLenInByte = 23084
; NumSgprs: 22
; NumVgprs: 228
; ScratchSize: 0
; MemoryBound: 0
; FloatMode: 240
; IeeeMode: 1
; LDSByteSize: 9360 bytes/workgroup (compile time only)
; SGPRBlocks: 2
; VGPRBlocks: 28
; NumSGPRsForWavesPerEU: 22
; NumVGPRsForWavesPerEU: 228
; Occupancy: 6
; WaveLimiterHint : 1
; COMPUTE_PGM_RSRC2:SCRATCH_EN: 0
; COMPUTE_PGM_RSRC2:USER_SGPR: 2
; COMPUTE_PGM_RSRC2:TRAP_HANDLER: 0
; COMPUTE_PGM_RSRC2:TGID_X_EN: 1
; COMPUTE_PGM_RSRC2:TGID_Y_EN: 0
; COMPUTE_PGM_RSRC2:TGID_Z_EN: 0
; COMPUTE_PGM_RSRC2:TIDIG_COMP_CNT: 0
	.text
	.p2alignl 7, 3214868480
	.fill 96, 4, 3214868480
	.type	__hip_cuid_d63b8b7c8e336ead,@object ; @__hip_cuid_d63b8b7c8e336ead
	.section	.bss,"aw",@nobits
	.globl	__hip_cuid_d63b8b7c8e336ead
__hip_cuid_d63b8b7c8e336ead:
	.byte	0                               ; 0x0
	.size	__hip_cuid_d63b8b7c8e336ead, 1

	.ident	"AMD clang version 19.0.0git (https://github.com/RadeonOpenCompute/llvm-project roc-6.4.0 25133 c7fe45cf4b819c5991fe208aaa96edf142730f1d)"
	.section	".note.GNU-stack","",@progbits
	.addrsig
	.addrsig_sym __hip_cuid_d63b8b7c8e336ead
	.amdgpu_metadata
---
amdhsa.kernels:
  - .args:
      - .actual_access:  read_only
        .address_space:  global
        .offset:         0
        .size:           8
        .value_kind:     global_buffer
      - .actual_access:  read_only
        .address_space:  global
        .offset:         8
        .size:           8
        .value_kind:     global_buffer
      - .actual_access:  read_only
        .address_space:  global
        .offset:         16
        .size:           8
        .value_kind:     global_buffer
      - .actual_access:  read_only
        .address_space:  global
        .offset:         24
        .size:           8
        .value_kind:     global_buffer
      - .actual_access:  read_only
        .address_space:  global
        .offset:         32
        .size:           8
        .value_kind:     global_buffer
      - .offset:         40
        .size:           8
        .value_kind:     by_value
      - .address_space:  global
        .offset:         48
        .size:           8
        .value_kind:     global_buffer
      - .address_space:  global
        .offset:         56
        .size:           8
        .value_kind:     global_buffer
      - .address_space:  global
        .offset:         64
        .size:           8
        .value_kind:     global_buffer
      - .address_space:  global
        .offset:         72
        .size:           8
        .value_kind:     global_buffer
      - .offset:         80
        .size:           4
        .value_kind:     by_value
      - .address_space:  global
        .offset:         88
        .size:           8
        .value_kind:     global_buffer
      - .address_space:  global
        .offset:         96
        .size:           8
        .value_kind:     global_buffer
    .group_segment_fixed_size: 9360
    .kernarg_segment_align: 8
    .kernarg_segment_size: 104
    .language:       OpenCL C
    .language_version:
      - 2
      - 0
    .max_flat_workgroup_size: 234
    .name:           bluestein_single_back_len780_dim1_half_op_CI_CI
    .private_segment_fixed_size: 0
    .sgpr_count:     22
    .sgpr_spill_count: 0
    .symbol:         bluestein_single_back_len780_dim1_half_op_CI_CI.kd
    .uniform_work_group_size: 1
    .uses_dynamic_stack: false
    .vgpr_count:     228
    .vgpr_spill_count: 0
    .wavefront_size: 32
    .workgroup_processor_mode: 1
amdhsa.target:   amdgcn-amd-amdhsa--gfx1201
amdhsa.version:
  - 1
  - 2
...

	.end_amdgpu_metadata
